;; amdgpu-corpus repo=zjin-lcf/HeCBench kind=compiled arch=gfx1250 opt=O3
	.amdgcn_target "amdgcn-amd-amdhsa--gfx1250"
	.amdhsa_code_object_version 6
	.text
	.p2align	2                               ; -- Begin function _Z12cuda_rys_pbfPKdS0_S0_S0_
	.type	_Z12cuda_rys_pbfPKdS0_S0_S0_,@function
_Z12cuda_rys_pbfPKdS0_S0_S0_:           ; @_Z12cuda_rys_pbfPKdS0_S0_S0_
; %bb.0:
	s_wait_loadcnt_dscnt 0x0
	s_wait_kmcnt 0x0
	s_or_saveexec_b32 s0, -1
	scratch_store_b32 off, v91, s32 offset:372 ; 4-byte Folded Spill
	s_wait_xcnt 0x0
	s_mov_b32 exec_lo, s0
	s_clause 0x1a
	scratch_store_b32 off, v40, s32 offset:104
	; meta instruction
	scratch_store_b32 off, v41, s32 offset:100
	; meta instruction
	;; [unrolled: 2-line block ×26, first 2 shown]
	scratch_store_b32 off, v90, s32
	v_writelane_b32 v91, s34, 0
	v_writelane_b32 v91, s35, 1
	;; [unrolled: 1-line block ×9, first 2 shown]
	flat_load_b128 v[24:27], v[0:1] offset:16
	s_clause 0x1
	flat_load_b128 v[34:37], v[2:3]
	flat_load_b128 v[8:11], v[2:3] offset:48
	flat_load_b128 v[12:15], v[0:1] offset:48
	;; [unrolled: 1-line block ×3, first 2 shown]
	s_clause 0x1
	flat_load_b128 v[48:51], v[6:7]
	flat_load_b128 v[16:19], v[6:7] offset:48
	flat_load_b128 v[20:23], v[4:5] offset:48
	;; [unrolled: 1-line block ×3, first 2 shown]
	s_clause 0x1
	flat_load_b128 v[100:103], v[0:1] offset:32
	flat_load_b128 v[112:115], v[0:1]
	s_clause 0x1
	flat_load_b128 v[116:119], v[4:5]
	flat_load_b128 v[40:43], v[4:5] offset:16
	flat_load_b128 v[44:47], v[2:3] offset:32
                                        ; kill: killed $vgpr0 killed $vgpr1
                                        ; kill: killed $vgpr2 killed $vgpr3
	flat_load_b128 v[0:3], v[4:5] offset:32
	flat_load_b128 v[4:7], v[6:7] offset:32
	s_wait_loadcnt_dscnt 0xf0f
	v_cvt_i32_f64_e32 v33, v[26:27]
	s_wait_loadcnt_dscnt 0xe0e
	v_cvt_f32_f64_e32 v64, v[34:35]
	s_wait_loadcnt_dscnt 0xd0d
	v_cvt_f32_f64_e32 v68, v[8:9]
	v_cvt_f32_f64_e32 v55, v[36:37]
	s_wait_loadcnt_dscnt 0xc0c
	v_cvt_f32_f64_e32 v69, v[12:13]
	s_wait_loadcnt_dscnt 0xa0a
	;; [unrolled: 2-line block ×3, first 2 shown]
	v_cvt_f32_f64_e32 v83, v[16:17]
	v_cvt_f32_f64_e32 v65, v[50:51]
	;; [unrolled: 1-line block ×3, first 2 shown]
	s_wait_loadcnt_dscnt 0x606
	v_cvt_i32_f64_e32 v38, v[100:101]
	s_wait_loadcnt_dscnt 0x505
	v_cvt_f32_f64_e32 v80, v[112:113]
	v_cvt_f32_f64_e32 v50, v[114:115]
	;; [unrolled: 1-line block ×5, first 2 shown]
	s_wait_loadcnt_dscnt 0x404
	v_cvt_f32_f64_e32 v71, v[116:117]
	v_cvt_i32_f64_e32 v34, v[102:103]
	v_cvt_i32_f64_e32 v24, v[30:31]
	v_cvt_f32_f64_e32 v49, v[118:119]
	s_wait_loadcnt_dscnt 0x303
	v_cvt_f32_f64_e32 v36, v[40:41]
	s_wait_loadcnt_dscnt 0x202
	v_cvt_i32_f64_e32 v25, v[44:45]
	v_cvt_i32_f64_e32 v26, v[46:47]
	;; [unrolled: 1-line block ×3, first 2 shown]
	s_wait_loadcnt_dscnt 0x101
	v_cvt_i32_f64_e32 v48, v[0:1]
	v_cvt_i32_f64_e32 v35, v[2:3]
	;; [unrolled: 1-line block ×3, first 2 shown]
	s_wait_loadcnt_dscnt 0x0
	v_cvt_i32_f64_e32 v28, v[4:5]
	v_cvt_i32_f64_e32 v29, v[6:7]
	v_dual_mul_f32 v0, v64, v68 :: v_dual_mul_f32 v1, v55, v68
	v_dual_add_f32 v39, v69, v68 :: v_dual_mul_f32 v3, v70, v83
	v_mul_f32_e32 v4, v65, v83
	s_wait_xcnt 0x0
	v_dual_mul_f32 v2, v53, v68 :: v_dual_add_nc_u32 v6, v38, v33
	v_dual_fmac_f32 v0, v80, v69 :: v_dual_fmac_f32 v1, v50, v69
	v_dual_add_f32 v51, v84, v83 :: v_dual_mul_f32 v5, v54, v83
	s_delay_alu instid0(VALU_DEP_3) | instskip(NEXT) | instid1(VALU_DEP_3)
	v_fmac_f32_e32 v2, v37, v69
	v_div_scale_f32 v7, null, v39, v39, v0
	v_fmac_f32_e32 v3, v71, v84
	v_add3_u32 v6, v6, v34, v24
	v_dual_fmac_f32 v4, v49, v84 :: v_dual_mul_f32 v85, v39, v51
	s_delay_alu instid0(VALU_DEP_4) | instskip(SKIP_4) | instid1(TRANS32_DEP_1)
	v_rcp_f32_e32 v81, v7
	v_fmac_f32_e32 v5, v36, v84
	v_div_scale_f32 v8, null, v39, v39, v1
	v_add3_u32 v6, v6, v25, v26
	v_div_scale_f32 v9, null, v39, v39, v2
	v_fma_f32 v101, -v7, v81, 1.0
	v_add_f32_e32 v30, v39, v51
	v_div_scale_f32 v17, null, v51, v51, v3
	v_div_scale_f32 v21, null, v51, v51, v4
	s_delay_alu instid0(VALU_DEP_4) | instskip(NEXT) | instid1(VALU_DEP_4)
	v_fmac_f32_e32 v81, v101, v81
	v_div_scale_f32 v67, null, v30, v30, v85
	v_div_scale_f32 v32, null, v51, v51, v5
	v_rcp_f32_e32 v82, v8
	v_add3_u32 v6, v6, v52, v48
	v_rcp_f32_e32 v86, v9
	v_rcp_f32_e32 v87, v17
	;; [unrolled: 1-line block ×5, first 2 shown]
	v_add3_u32 v6, v6, v35, v27
	v_fma_f32 v102, -v8, v82, 1.0
	v_div_scale_f32 v12, vcc_lo, v0, v39, v0
	v_fma_f32 v103, -v9, v86, 1.0
	v_fma_f32 v112, -v17, v87, 1.0
	;; [unrolled: 1-line block ×4, first 2 shown]
	v_add3_u32 v96, v6, v28, v29
	v_div_scale_f32 v13, s0, v1, v39, v1
	v_fma_f32 v114, -v32, v99, 1.0
	v_dual_fmac_f32 v82, v102, v82 :: v_dual_fmac_f32 v87, v112, v87
	v_div_scale_f32 v16, s1, v2, v39, v2
	v_div_scale_f32 v20, s2, v3, v51, v3
	;; [unrolled: 1-line block ×4, first 2 shown]
	v_dual_fmac_f32 v86, v103, v86 :: v_dual_fmac_f32 v99, v114, v99
	v_dual_fmac_f32 v98, v113, v98 :: v_dual_fmac_f32 v100, v115, v100
	v_dual_mul_f32 v101, v12, v81 :: v_dual_lshrrev_b32 v6, 31, v96
	v_div_scale_f32 v66, s4, v5, v51, v5
	v_dual_mul_f32 v102, v13, v82 :: v_dual_mul_f32 v112, v20, v87
	s_delay_alu instid0(VALU_DEP_2) | instskip(SKIP_1) | instid1(VALU_DEP_3)
	v_dual_mul_f32 v103, v16, v86 :: v_dual_mul_f32 v114, v66, v99
	v_dual_mul_f32 v113, v31, v98 :: v_dual_mul_f32 v115, v97, v100
	v_dual_fma_f32 v116, -v7, v101, v12 :: v_dual_fma_f32 v117, -v8, v102, v13
	s_delay_alu instid0(VALU_DEP_3) | instskip(NEXT) | instid1(VALU_DEP_3)
	v_dual_fma_f32 v118, -v9, v103, v16 :: v_dual_fma_f32 v41, -v32, v114, v66
	v_dual_fma_f32 v119, -v17, v112, v20 :: v_dual_fma_f32 v42, -v67, v115, v97
	s_delay_alu instid0(VALU_DEP_4) | instskip(NEXT) | instid1(VALU_DEP_4)
	v_fma_f32 v40, -v21, v113, v31
	v_dual_fmac_f32 v101, v116, v81 :: v_dual_fmac_f32 v102, v117, v82
	s_delay_alu instid0(VALU_DEP_4) | instskip(NEXT) | instid1(VALU_DEP_3)
	v_dual_fmac_f32 v103, v118, v86 :: v_dual_fmac_f32 v114, v41, v99
	v_dual_fmac_f32 v112, v119, v87 :: v_dual_fmac_f32 v113, v40, v98
	s_delay_alu instid0(VALU_DEP_3) | instskip(NEXT) | instid1(VALU_DEP_3)
	v_dual_fma_f32 v7, -v7, v101, v12 :: v_dual_fma_f32 v8, -v8, v102, v13
	v_fma_f32 v9, -v9, v103, v16
	s_delay_alu instid0(VALU_DEP_3) | instskip(NEXT) | instid1(VALU_DEP_3)
	v_dual_fma_f32 v12, -v17, v112, v20 :: v_dual_fma_f32 v16, -v32, v114, v66
	v_div_fmas_f32 v7, v7, v81, v101
	s_mov_b32 vcc_lo, s0
	s_mov_b32 s0, exec_lo
	v_div_fmas_f32 v8, v8, v82, v102
	s_mov_b32 vcc_lo, s1
	v_div_fmas_f32 v9, v9, v86, v103
	s_mov_b32 vcc_lo, s2
	s_delay_alu instid0(VALU_DEP_2)
	v_div_fixup_f32 v81, v8, v39, v1
	v_div_fmas_f32 v12, v12, v87, v112
	v_fmac_f32_e32 v115, v42, v100
	v_fma_f32 v13, -v21, v113, v31
	s_mov_b32 vcc_lo, s3
	v_div_fixup_f32 v86, v7, v39, v0
	v_div_fixup_f32 v87, v12, v51, v3
	v_fma_f32 v3, -v67, v115, v97
	v_div_fmas_f32 v13, v13, v98, v113
	s_mov_b32 vcc_lo, s4
	v_div_fixup_f32 v66, v9, v39, v2
	v_div_fmas_f32 v0, v16, v99, v114
	s_mov_b32 vcc_lo, s5
	v_div_fixup_f32 v82, v13, v51, v4
	s_delay_alu instid0(VALU_DEP_2) | instskip(NEXT) | instid1(VALU_DEP_2)
	v_div_fixup_f32 v67, v0, v51, v5
	v_dual_sub_f32 v1, v81, v82 :: v_dual_sub_f32 v0, v86, v87
	v_div_fmas_f32 v2, v3, v100, v115
	s_delay_alu instid0(VALU_DEP_2) | instskip(NEXT) | instid1(VALU_DEP_2)
	v_dual_mul_f32 v1, v1, v1 :: v_dual_sub_f32 v3, v66, v67
	v_div_fixup_f32 v31, v2, v30, v85
	s_delay_alu instid0(VALU_DEP_2) | instskip(NEXT) | instid1(VALU_DEP_1)
	v_fmac_f32_e32 v1, v0, v0
	v_dual_fmac_f32 v1, v3, v3 :: v_dual_add_nc_u32 v0, v96, v6
	s_delay_alu instid0(VALU_DEP_1)
	v_dual_ashrrev_i32 v32, 1, v0 :: v_dual_mul_f32 v8, v31, v1
	v_cmpx_lt_i32_e32 5, v96
	s_xor_b32 s4, exec_lo, s0
	s_cbranch_execz .LBB0_82
; %bb.1:
	s_mov_b32 s0, exec_lo
	v_cmpx_lt_i32_e32 3, v32
	s_xor_b32 s5, exec_lo, s0
	s_cbranch_execz .LBB0_41
; %bb.2:
	s_mov_b32 s6, exec_lo
	v_cmpx_eq_u32_e32 4, v32
	s_cbranch_execz .LBB0_40
; %bb.3:
                                        ; implicit-def: $vgpr17
                                        ; implicit-def: $vgpr5
                                        ; implicit-def: $vgpr2_vgpr3
	s_mov_b32 s0, exec_lo
	v_cmpx_ngt_f32_e32 0x34a10fb0, v8
	s_xor_b32 s7, exec_lo, s0
	s_cbranch_execz .LBB0_37
; %bb.4:
                                        ; implicit-def: $vgpr17
                                        ; implicit-def: $vgpr5
                                        ; implicit-def: $vgpr2_vgpr3
	s_mov_b32 s0, exec_lo
	v_cmpx_ngt_f32_e32 1.0, v8
	s_xor_b32 s8, exec_lo, s0
	s_cbranch_execz .LBB0_34
; %bb.5:
                                        ; implicit-def: $vgpr17
                                        ; implicit-def: $vgpr5
                                        ; implicit-def: $vgpr2_vgpr3
	s_mov_b32 s0, exec_lo
	v_cmpx_ngt_f32_e32 0x40a00000, v8
	s_xor_b32 s9, exec_lo, s0
	s_cbranch_execz .LBB0_31
; %bb.6:
                                        ; implicit-def: $vgpr17
                                        ; implicit-def: $vgpr5
                                        ; implicit-def: $vgpr2_vgpr3
	s_mov_b32 s0, exec_lo
	v_cmpx_ngt_f32_e32 0x41200000, v8
	;; [unrolled: 8-line block ×6, first 2 shown]
	s_xor_b32 s14, exec_lo, s0
	s_cbranch_execz .LBB0_16
; %bb.11:
	v_div_scale_f32 v0, null, v8, v8, 0x3f490fdb
	v_div_scale_f32 v3, vcc_lo, 0x3f490fdb, v8, 0x3f490fdb
                                        ; implicit-def: $vgpr17
	s_delay_alu instid0(VALU_DEP_2) | instskip(SKIP_1) | instid1(TRANS32_DEP_1)
	v_rcp_f32_e32 v1, v0
	v_nop
	v_fma_f32 v2, -v0, v1, 1.0
	s_delay_alu instid0(VALU_DEP_1) | instskip(NEXT) | instid1(VALU_DEP_1)
	v_fmac_f32_e32 v1, v2, v1
	v_mul_f32_e32 v2, v3, v1
	s_delay_alu instid0(VALU_DEP_1) | instskip(NEXT) | instid1(VALU_DEP_1)
	v_fma_f32 v4, -v0, v2, v3
	v_fmac_f32_e32 v2, v4, v1
	s_delay_alu instid0(VALU_DEP_1) | instskip(NEXT) | instid1(VALU_DEP_1)
	v_fma_f32 v0, -v0, v2, v3
	v_div_fmas_f32 v0, v0, v1, v2
	s_delay_alu instid0(VALU_DEP_1) | instskip(NEXT) | instid1(VALU_DEP_1)
	v_div_fixup_f32 v0, v0, v8, 0x3f490fdb
	v_mul_f32_e32 v1, 0x4f800000, v0
	v_cmp_gt_f32_e32 vcc_lo, 0xf800000, v0
	s_delay_alu instid0(VALU_DEP_2) | instskip(NEXT) | instid1(VALU_DEP_1)
	v_cndmask_b32_e32 v0, v0, v1, vcc_lo
	v_sqrt_f32_e32 v1, v0
	v_nop
	s_delay_alu instid0(TRANS32_DEP_1) | instskip(NEXT) | instid1(VALU_DEP_1)
	v_dual_add_nc_u32 v2, -1, v1 :: v_dual_add_nc_u32 v3, 1, v1
	v_dual_fma_f32 v4, -v2, v1, v0 :: v_dual_fma_f32 v5, -v3, v1, v0
	s_delay_alu instid0(VALU_DEP_1) | instskip(NEXT) | instid1(VALU_DEP_1)
	v_cmp_ge_f32_e64 s0, 0, v4
	v_cndmask_b32_e64 v1, v1, v2, s0
	s_delay_alu instid0(VALU_DEP_3) | instskip(NEXT) | instid1(VALU_DEP_1)
	v_cmp_lt_f32_e64 s0, 0, v5
                                        ; implicit-def: $vgpr5
	v_cndmask_b32_e64 v1, v1, v3, s0
	v_cmp_class_f32_e64 s0, v0, 0x260
	s_delay_alu instid0(VALU_DEP_2) | instskip(NEXT) | instid1(VALU_DEP_1)
	v_mul_f32_e32 v2, 0x37800000, v1
	v_cndmask_b32_e32 v1, v1, v2, vcc_lo
	s_delay_alu instid0(VALU_DEP_1)
	v_cndmask_b32_e64 v12, v1, v0, s0
                                        ; implicit-def: $vgpr2_vgpr3
	s_mov_b32 s0, exec_lo
	v_cmpx_ngt_f32_e32 0x426c0000, v8
	s_xor_b32 s15, exec_lo, s0
	s_cbranch_execz .LBB0_13
; %bb.12:
	v_mov_b64_e32 v[0:1], 0xbf898b3fbdf0ce7a
	v_add_f32_e32 v9, 0xc13cea40, v8
	v_mov_b64_e32 v[2:3], 0xc0cd4577c0458000
	s_delay_alu instid0(VALU_DEP_2) | instskip(NEXT) | instid1(VALU_DEP_1)
	v_pk_add_f32 v[0:1], v[8:9], v[0:1] op_sel_hi:[0,1]
	v_div_scale_f32 v4, null, v1, v1, 0x3f898b3f
	s_delay_alu instid0(VALU_DEP_2) | instskip(SKIP_1) | instid1(VALU_DEP_3)
	v_div_scale_f32 v5, null, v0, v0, 0x3df0ce7a
	v_div_scale_f32 v20, vcc_lo, 0x3f898b3f, v1, 0x3f898b3f
	v_rcp_f32_e32 v7, v4
	s_delay_alu instid0(VALU_DEP_2) | instskip(SKIP_1) | instid1(TRANS32_DEP_2)
	v_rcp_f32_e32 v17, v5
	v_div_scale_f32 v97, s1, 0x3df0ce7a, v0, 0x3df0ce7a
	v_fma_f32 v98, -v4, v7, 1.0
	s_delay_alu instid0(TRANS32_DEP_1) | instskip(NEXT) | instid1(VALU_DEP_1)
	v_fma_f32 v99, -v5, v17, 1.0
	v_dual_fmac_f32 v7, v98, v7 :: v_dual_fmac_f32 v17, v99, v17
	s_delay_alu instid0(VALU_DEP_1) | instskip(SKIP_2) | instid1(VALU_DEP_3)
	v_mul_f32_e32 v102, v20, v7
	v_pk_add_f32 v[2:3], v[8:9], v[2:3] op_sel_hi:[0,1]
	v_div_scale_f32 v13, null, v9, v9, 0x413cea40
	v_dual_mul_f32 v103, v97, v17 :: v_dual_fma_f32 v112, -v4, v102, v20
	s_delay_alu instid0(VALU_DEP_3) | instskip(NEXT) | instid1(VALU_DEP_4)
	v_div_scale_f32 v6, null, v3, v3, 0x40cd4577
	v_div_scale_f32 v100, null, v2, v2, 0x40458000
	s_delay_alu instid0(VALU_DEP_4) | instskip(NEXT) | instid1(VALU_DEP_2)
	v_rcp_f32_e32 v8, v13
	v_rcp_f32_e32 v21, v6
	v_div_scale_f32 v98, s2, 0x40cd4577, v3, 0x40cd4577
	s_delay_alu instid0(VALU_DEP_2) | instskip(SKIP_1) | instid1(TRANS32_DEP_3)
	v_rcp_f32_e32 v99, v100
	v_div_scale_f32 v16, s0, 0x413cea40, v9, 0x413cea40
	v_fma_f32 v116, -v13, v8, 1.0
	s_delay_alu instid0(TRANS32_DEP_2) | instskip(SKIP_1) | instid1(TRANS32_DEP_1)
	v_fma_f32 v101, -v6, v21, 1.0
	v_fmac_f32_e32 v102, v112, v7
	v_fma_f32 v115, -v100, v99, 1.0
	s_delay_alu instid0(VALU_DEP_3) | instskip(SKIP_2) | instid1(VALU_DEP_3)
	v_dual_fmac_f32 v8, v116, v8 :: v_dual_fmac_f32 v21, v101, v21
	v_fma_f32 v113, -v5, v103, v97
	v_div_scale_f32 v101, s3, 0x40458000, v2, 0x40458000
	v_dual_fmac_f32 v99, v115, v99 :: v_dual_mul_f32 v114, v98, v21
	s_delay_alu instid0(VALU_DEP_1) | instskip(NEXT) | instid1(VALU_DEP_1)
	v_dual_fmac_f32 v103, v113, v17 :: v_dual_fma_f32 v112, -v6, v114, v98
	v_dual_fma_f32 v4, -v4, v102, v20 :: v_dual_fma_f32 v5, -v5, v103, v97
	s_delay_alu instid0(VALU_DEP_2) | instskip(SKIP_1) | instid1(VALU_DEP_3)
	v_dual_mul_f32 v20, v101, v99 :: v_dual_fmac_f32 v114, v112, v21
	v_mul_f32_e32 v97, v16, v8
	v_div_fmas_f32 v4, v4, v7, v102
	s_mov_b32 vcc_lo, s1
	s_delay_alu instid0(VALU_DEP_3) | instskip(NEXT) | instid1(VALU_DEP_3)
	v_dual_fma_f32 v6, -v6, v114, v98 :: v_dual_fma_f32 v7, -v100, v20, v101
	v_fma_f32 v102, -v13, v97, v16
	v_div_fmas_f32 v17, v5, v17, v103
	v_div_fixup_f32 v1, v4, v1, 0x3f898b3f
	v_mov_b64_e32 v[4:5], 0x3ac6b9473d1c8fe4
	s_delay_alu instid0(VALU_DEP_4) | instskip(SKIP_3) | instid1(VALU_DEP_3)
	v_dual_fmac_f32 v20, v7, v99 :: v_dual_fmac_f32 v97, v102, v8
	s_mov_b32 vcc_lo, s2
	v_div_fixup_f32 v0, v17, v0, 0x3df0ce7a
	v_div_fmas_f32 v21, v6, v21, v114
	v_fma_f32 v98, -v100, v20, v101
	v_pk_mul_f32 v[6:7], v[12:13], v[4:5] op_sel_hi:[0,1]
	v_fmamk_f32 v4, v12, 0xbe8abc3d, v12
	v_fma_f32 v5, -v13, v97, v16
	s_mov_b32 vcc_lo, s3
	v_div_fixup_f32 v3, v21, v3, 0x40cd4577
	v_div_fmas_f32 v13, v98, v99, v20
	s_mov_b32 vcc_lo, s0
	v_sub_f32_e32 v4, v4, v6
	v_div_fmas_f32 v5, v5, v8, v97
	v_mul_f32_e32 v16, 0x3710a439, v12
	v_div_fixup_f32 v2, v13, v2, 0x40458000
                                        ; implicit-def: $vgpr8
	s_delay_alu instid0(VALU_DEP_3) | instskip(SKIP_1) | instid1(VALU_DEP_1)
	v_div_fixup_f32 v17, v5, v9, 0x413cea40
	v_dual_mul_f32 v5, 0x3e8abc3d, v12 :: v_dual_sub_f32 v4, v4, v7
	v_fmamk_f32 v4, v12, 0xb710a439, v4
                                        ; implicit-def: $vgpr12
.LBB0_13:
	s_and_not1_saveexec_b32 s0, s15
	s_cbranch_execz .LBB0_15
; %bb.14:
	v_cmp_eq_f32_e32 vcc_lo, 1.0, v8
	v_frexp_mant_f32_e32 v0, v8
	s_mov_b32 s1, 0x3e76c4e1
	v_mov_b64_e32 v[100:101], 0xb814fdf2b9dbe18f
	v_cndmask_b32_e64 v13, 0x40400000, 1.0, vcc_lo
	s_delay_alu instid0(VALU_DEP_3) | instskip(SKIP_1) | instid1(VALU_DEP_1)
	v_cmp_gt_f32_e32 vcc_lo, 0x3f2aaaab, v0
	v_cndmask_b32_e64 v1, 1.0, 2.0, vcc_lo
	v_mul_f32_e32 v0, v0, v1
	s_delay_alu instid0(VALU_DEP_1) | instskip(NEXT) | instid1(VALU_DEP_1)
	v_add_f32_e32 v3, 1.0, v0
	v_add_f32_e32 v1, -1.0, v3
	s_delay_alu instid0(VALU_DEP_1)
	v_sub_f32_e32 v5, v0, v1
	v_rcp_f32_e32 v9, v3
	v_add_f32_e32 v1, -1.0, v0
	s_delay_alu instid0(TRANS32_DEP_1) | instid1(VALU_DEP_1)
	v_mul_f32_e32 v16, v1, v9
	s_delay_alu instid0(VALU_DEP_1) | instskip(NEXT) | instid1(VALU_DEP_1)
	v_mul_f32_e32 v2, v3, v16
	v_fma_f32 v4, v16, v3, -v2
	s_delay_alu instid0(VALU_DEP_1) | instskip(NEXT) | instid1(VALU_DEP_1)
	v_fmac_f32_e32 v4, v16, v5
	v_add_f32_e32 v0, v2, v4
	s_delay_alu instid0(VALU_DEP_1) | instskip(NEXT) | instid1(VALU_DEP_1)
	v_dual_sub_f32 v3, v1, v0 :: v_dual_mov_b32 v5, v0
	v_pk_add_f32 v[6:7], v[0:1], v[2:3] neg_lo:[0,1] neg_hi:[0,1]
	s_delay_alu instid0(VALU_DEP_1) | instskip(NEXT) | instid1(VALU_DEP_1)
	v_pk_add_f32 v[0:1], v[6:7], v[4:5] neg_lo:[0,1] neg_hi:[0,1]
	v_add_f32_e32 v0, v0, v1
	s_delay_alu instid0(VALU_DEP_1) | instskip(NEXT) | instid1(VALU_DEP_1)
	v_add_f32_e32 v0, v3, v0
	v_mul_f32_e32 v1, v9, v0
	s_delay_alu instid0(VALU_DEP_1) | instskip(NEXT) | instid1(VALU_DEP_1)
	v_add_f32_e32 v0, v16, v1
	v_sub_f32_e32 v2, v0, v16
	s_delay_alu instid0(VALU_DEP_1) | instskip(NEXT) | instid1(VALU_DEP_1)
	v_dual_sub_f32 v9, v1, v2 :: v_dual_mul_f32 v1, v0, v0
	v_dual_add_f32 v2, v9, v9 :: v_dual_fma_f32 v3, v0, v0, -v1
	s_delay_alu instid0(VALU_DEP_1) | instskip(NEXT) | instid1(VALU_DEP_1)
	v_fmac_f32_e32 v3, v0, v2
	v_add_f32_e32 v2, v1, v3
	s_delay_alu instid0(VALU_DEP_1) | instskip(SKIP_1) | instid1(VALU_DEP_1)
	v_dual_fmaak_f32 v4, s1, v2, 0x3e91f4c4 :: v_dual_sub_f32 v1, v2, v1
	s_mov_b32 s1, 0xc055bca2
	v_fmaak_f32 v4, v2, v4, 0x3ecccdef
	s_delay_alu instid0(VALU_DEP_1) | instskip(NEXT) | instid1(VALU_DEP_1)
	v_dual_sub_f32 v20, v3, v1 :: v_dual_mul_f32 v1, v2, v4
	v_fma_f32 v3, v2, v4, -v1
	s_delay_alu instid0(VALU_DEP_1) | instskip(NEXT) | instid1(VALU_DEP_1)
	v_fmac_f32_e32 v3, v20, v4
	v_add_f32_e32 v4, v1, v3
	s_delay_alu instid0(VALU_DEP_1) | instskip(NEXT) | instid1(VALU_DEP_1)
	v_sub_f32_e32 v1, v4, v1
	v_sub_f32_e32 v1, v3, v1
	s_delay_alu instid0(VALU_DEP_1) | instskip(SKIP_1) | instid1(VALU_DEP_1)
	v_add_f32_e32 v1, 0x31739010, v1
	v_add_f32_e32 v5, 0x3f2aaaaa, v4
	;; [unrolled: 1-line block ×3, first 2 shown]
	s_delay_alu instid0(VALU_DEP_1) | instskip(NEXT) | instid1(VALU_DEP_1)
	v_sub_f32_e32 v3, v4, v3
	v_pk_mul_f32 v[6:7], v[0:1], v[2:3]
	v_pk_add_f32 v[16:17], v[0:1], v[2:3]
	s_delay_alu instid0(VALU_DEP_1) | instskip(NEXT) | instid1(VALU_DEP_1)
	v_dual_fma_f32 v4, v2, v0, -v6 :: v_dual_mov_b32 v7, v17
	v_fmac_f32_e32 v4, v2, v9
	v_ldexp_f32 v9, v9, 1
	s_delay_alu instid0(VALU_DEP_2) | instskip(NEXT) | instid1(VALU_DEP_1)
	v_fmac_f32_e32 v4, v20, v0
	v_pk_add_f32 v[2:3], v[6:7], v[4:5]
	s_delay_alu instid0(VALU_DEP_1) | instskip(NEXT) | instid1(VALU_DEP_1)
	v_sub_f32_e32 v1, v2, v6
	v_dual_sub_f32 v1, v4, v1 :: v_dual_sub_f32 v4, v5, v3
	s_delay_alu instid0(VALU_DEP_1) | instskip(SKIP_1) | instid1(VALU_DEP_2)
	v_dual_add_f32 v7, v17, v4 :: v_dual_mov_b32 v4, v3
	v_ldexp_f32 v17, v0, 1
	v_pk_mul_f32 v[4:5], v[2:3], v[4:5]
	s_delay_alu instid0(VALU_DEP_1) | instskip(NEXT) | instid1(VALU_DEP_1)
	v_fma_f32 v6, v2, v3, -v4
	v_fmac_f32_e32 v6, v2, v7
	s_delay_alu instid0(VALU_DEP_1) | instskip(SKIP_1) | instid1(VALU_DEP_1)
	v_fmac_f32_e32 v6, v1, v3
	v_cvt_f64_f32_e32 v[2:3], v8
	v_frexp_exp_i32_f64_e32 v1, v[2:3]
	s_delay_alu instid0(VALU_DEP_1) | instskip(NEXT) | instid1(VALU_DEP_1)
	v_subrev_co_ci_u32_e64 v1, null, 0, v1, vcc_lo
	v_cvt_f32_i32_e32 v1, v1
	s_delay_alu instid0(VALU_DEP_1) | instskip(NEXT) | instid1(VALU_DEP_1)
	v_mul_f32_e32 v2, 0x3f317218, v1
	v_fma_f32 v3, 0x3f317218, v1, -v2
	s_delay_alu instid0(VALU_DEP_1) | instskip(NEXT) | instid1(VALU_DEP_1)
	v_dual_fmamk_f32 v16, v1, 0xb102e308, v3 :: v_dual_add_f32 v3, v4, v6
	v_pk_add_f32 v[0:1], v[2:3], v[16:17]
	v_dual_mov_b32 v20, v3 :: v_dual_mov_b32 v5, v17
	s_delay_alu instid0(VALU_DEP_2) | instskip(NEXT) | instid1(VALU_DEP_3)
	v_dual_mov_b32 v7, v3 :: v_dual_mov_b32 v21, v1
	v_mov_b32_e32 v17, v0
	s_delay_alu instid0(VALU_DEP_2) | instskip(NEXT) | instid1(VALU_DEP_1)
	v_pk_add_f32 v[4:5], v[20:21], v[4:5] neg_lo:[0,1] neg_hi:[0,1]
	v_pk_add_f32 v[4:5], v[6:7], v[4:5] neg_lo:[0,1] neg_hi:[0,1]
	s_delay_alu instid0(VALU_DEP_1) | instskip(NEXT) | instid1(VALU_DEP_1)
	v_add_f32_e32 v3, v9, v4
	v_add_f32_e32 v3, v3, v5
	s_delay_alu instid0(VALU_DEP_1) | instskip(SKIP_1) | instid1(VALU_DEP_2)
	v_pk_add_f32 v[6:7], v[0:1], v[2:3]
	v_pk_add_f32 v[4:5], v[0:1], v[2:3] neg_lo:[0,1] neg_hi:[0,1]
	v_mov_b32_e32 v5, v7
	s_delay_alu instid0(VALU_DEP_1) | instskip(SKIP_1) | instid1(VALU_DEP_1)
	v_pk_add_f32 v[20:21], v[16:17], v[4:5] neg_lo:[0,1] neg_hi:[0,1]
	v_pk_add_f32 v[4:5], v[16:17], v[4:5]
	v_dual_mov_b32 v4, v7 :: v_dual_mov_b32 v21, v5
	v_mov_b32_e32 v2, v5
	s_delay_alu instid0(VALU_DEP_1) | instskip(NEXT) | instid1(VALU_DEP_1)
	v_pk_add_f32 v[16:17], v[2:3], v[0:1] neg_lo:[0,1] neg_hi:[0,1]
	v_mov_b32_e32 v9, v16
	s_delay_alu instid0(VALU_DEP_1) | instskip(SKIP_2) | instid1(VALU_DEP_2)
	v_pk_add_f32 v[98:99], v[6:7], v[8:9] neg_lo:[0,1] neg_hi:[0,1]
	v_dual_mov_b32 v6, v1 :: v_dual_mov_b32 v7, v16
	v_mov_b32_e32 v98, v20
	v_pk_add_f32 v[4:5], v[4:5], v[6:7] neg_lo:[0,1] neg_hi:[0,1]
	v_dual_mov_b32 v6, v3 :: v_dual_mov_b32 v7, v0
	s_delay_alu instid0(VALU_DEP_1) | instskip(NEXT) | instid1(VALU_DEP_1)
	v_pk_add_f32 v[0:1], v[6:7], v[4:5] neg_lo:[0,1] neg_hi:[0,1]
	v_pk_add_f32 v[4:5], v[98:99], v[0:1]
	v_mov_b64_e32 v[98:99], 0xc13cea4036221549
	s_delay_alu instid0(VALU_DEP_2) | instskip(NEXT) | instid1(VALU_DEP_1)
	v_mov_b32_e32 v6, v5
	v_pk_add_f32 v[6:7], v[4:5], v[6:7]
	s_delay_alu instid0(VALU_DEP_1) | instskip(SKIP_2) | instid1(VALU_DEP_3)
	v_pk_add_f32 v[2:3], v[2:3], v[6:7]
	v_mov_b32_e32 v1, v6
	v_mov_b64_e32 v[6:7], 0x419a8d794004ac4a
	v_mov_b32_e32 v5, v2
	s_delay_alu instid0(VALU_DEP_1) | instskip(NEXT) | instid1(VALU_DEP_1)
	v_pk_add_f32 v[16:17], v[4:5], v[20:21] neg_lo:[0,1] neg_hi:[0,1]
	v_sub_f32_e32 v3, v4, v16
	s_delay_alu instid0(VALU_DEP_2) | instskip(NEXT) | instid1(VALU_DEP_2)
	v_pk_add_f32 v[0:1], v[0:1], v[16:17] neg_lo:[0,1] neg_hi:[0,1]
	v_sub_f32_e32 v3, v20, v3
	v_mov_b64_e32 v[20:21], 0x42fe1a034266bfe8
	s_delay_alu instid0(VALU_DEP_2) | instskip(NEXT) | instid1(VALU_DEP_1)
	v_add_f32_e32 v0, v0, v3
	v_add_f32_e32 v0, v0, v1
	s_delay_alu instid0(VALU_DEP_1) | instskip(NEXT) | instid1(VALU_DEP_1)
	v_add_f32_e32 v1, v2, v0
	v_sub_f32_e32 v2, v1, v2
	s_delay_alu instid0(VALU_DEP_1) | instskip(NEXT) | instid1(VALU_DEP_1)
	v_dual_sub_f32 v0, v0, v2 :: v_dual_mul_f32 v2, v13, v1
	v_fma_f32 v1, v13, v1, -v2
	v_cmp_class_f32_e64 vcc_lo, v2, 0x204
	s_delay_alu instid0(VALU_DEP_2) | instskip(NEXT) | instid1(VALU_DEP_1)
	v_fmac_f32_e32 v1, v13, v0
	v_add_f32_e32 v0, v2, v1
	s_delay_alu instid0(VALU_DEP_1) | instskip(NEXT) | instid1(VALU_DEP_1)
	v_dual_sub_f32 v3, v0, v2 :: v_dual_cndmask_b32 v0, v0, v2
	v_sub_f32_e32 v1, v1, v3
	s_delay_alu instid0(VALU_DEP_2) | instskip(NEXT) | instid1(VALU_DEP_2)
	v_cmp_neq_f32_e64 vcc_lo, 0x7f800000, |v0|
	v_cndmask_b32_e32 v1, 0, v1, vcc_lo
	v_cmp_eq_f32_e32 vcc_lo, 0x42b17218, v0
	s_delay_alu instid0(VALU_DEP_3) | instskip(NEXT) | instid1(VALU_DEP_1)
	v_cndmask_b32_e64 v2, 0, 0x37000000, vcc_lo
	v_dual_add_f32 v1, v2, v1 :: v_dual_sub_f32 v0, v0, v2
	s_delay_alu instid0(VALU_DEP_1) | instskip(NEXT) | instid1(VALU_DEP_1)
	v_mul_f32_e32 v2, 0x3fb8aa3b, v0
	v_fma_f32 v3, 0x3fb8aa3b, v0, -v2
	v_rndne_f32_e32 v4, v2
	s_delay_alu instid0(VALU_DEP_1) | instskip(SKIP_1) | instid1(VALU_DEP_4)
	v_sub_f32_e32 v2, v2, v4
	v_cmp_ngt_f32_e32 vcc_lo, 0xc2ce8ed0, v0
	v_fmamk_f32 v3, v0, 0x32a5705f, v3
	s_delay_alu instid0(VALU_DEP_1) | instskip(SKIP_1) | instid1(VALU_DEP_2)
	v_add_f32_e32 v2, v2, v3
	v_cvt_i32_f32_e32 v3, v4
	v_exp_f32_e32 v2, v2
	v_nop
	s_delay_alu instid0(TRANS32_DEP_1) | instskip(NEXT) | instid1(VALU_DEP_1)
	v_ldexp_f32 v2, v2, v3
	v_cndmask_b32_e32 v2, 0, v2, vcc_lo
	v_cmp_nlt_f32_e32 vcc_lo, 0x42b17218, v0
	s_delay_alu instid0(VALU_DEP_2) | instskip(NEXT) | instid1(VALU_DEP_1)
	v_cndmask_b32_e32 v0, 0x7f800000, v2, vcc_lo
	v_fma_f32 v1, v0, v1, v0
	v_cmp_class_f32_e64 vcc_lo, v0, 0x204
	s_delay_alu instid0(VALU_DEP_2) | instskip(SKIP_1) | instid1(VALU_DEP_2)
	v_cndmask_b32_e32 v0, v1, v0, vcc_lo
	v_cmp_nlt_f32_e32 vcc_lo, 0x42ce8ed0, v8
	v_and_b32_e32 v5, 0x7fffffff, v0
	v_mul_f32_e32 v0, 0xbfb8aa3b, v8
	s_delay_alu instid0(VALU_DEP_1) | instskip(NEXT) | instid1(VALU_DEP_1)
	v_rndne_f32_e32 v1, v0
	v_sub_f32_e32 v2, v0, v1
	v_fma_f32 v0, 0xbfb8aa3b, v8, -v0
	v_cvt_i32_f32_e32 v1, v1
	s_delay_alu instid0(VALU_DEP_2) | instskip(NEXT) | instid1(VALU_DEP_1)
	v_fmamk_f32 v0, v8, 0xb2a5705f, v0
	v_add_f32_e32 v0, v2, v0
	s_delay_alu instid0(VALU_DEP_1) | instskip(SKIP_1) | instid1(TRANS32_DEP_1)
	v_exp_f32_e32 v0, v0
	v_nop
	v_ldexp_f32 v0, v0, v1
	s_delay_alu instid0(VALU_DEP_1) | instskip(SKIP_1) | instid1(VALU_DEP_2)
	v_cndmask_b32_e32 v0, 0, v0, vcc_lo
	v_cmp_ngt_f32_e32 vcc_lo, 0xc2b17218, v8
	v_cndmask_b32_e32 v9, 0x7f800000, v0, vcc_lo
	v_mov_b64_e32 v[0:1], 0xbf898b3fbdf0ce7a
	s_delay_alu instid0(VALU_DEP_1) | instskip(SKIP_1) | instid1(VALU_DEP_2)
	v_pk_add_f32 v[2:3], v[8:9], v[0:1] op_sel_hi:[0,1]
	v_mov_b64_e32 v[0:1], 0xbe6a5acabcc7afde
	v_div_scale_f32 v4, null, v3, v3, 0x3f898b3f
	s_delay_alu instid0(VALU_DEP_2) | instskip(SKIP_1) | instid1(VALU_DEP_1)
	v_pk_fma_f32 v[0:1], v[8:9], v[0:1], v[6:7] op_sel_hi:[0,1,1]
	v_mov_b64_e32 v[6:7], 0xc415f195c281315e
	v_pk_fma_f32 v[0:1], v[8:9], v[0:1], v[6:7] op_sel_hi:[0,1,1]
	v_mov_b64_e32 v[6:7], 0x45ced38944328a3f
	s_delay_alu instid0(VALU_DEP_1) | instskip(SKIP_2) | instid1(TRANS32_DEP_1)
	v_pk_fma_f32 v[0:1], v[8:9], v[0:1], v[6:7] op_sel_hi:[0,1,1]
	v_rcp_f32_e32 v6, v4
	v_nop
	v_fma_f32 v7, -v4, v6, 1.0
	s_delay_alu instid0(VALU_DEP_1) | instskip(SKIP_1) | instid1(VALU_DEP_1)
	v_fmac_f32_e32 v6, v7, v6
	v_div_scale_f32 v7, vcc_lo, 0x3f898b3f, v3, 0x3f898b3f
	v_mul_f32_e32 v13, v7, v6
	s_delay_alu instid0(VALU_DEP_1) | instskip(NEXT) | instid1(VALU_DEP_1)
	v_fma_f32 v16, -v4, v13, v7
	v_fmac_f32_e32 v13, v16, v6
	s_delay_alu instid0(VALU_DEP_1) | instskip(NEXT) | instid1(VALU_DEP_1)
	v_fma_f32 v4, -v4, v13, v7
	v_div_fmas_f32 v4, v4, v6, v13
	s_delay_alu instid0(VALU_DEP_1) | instskip(SKIP_1) | instid1(VALU_DEP_1)
	v_div_fixup_f32 v3, v4, v3, 0x3f898b3f
	v_div_scale_f32 v4, null, v2, v2, 0x3df0ce7a
	v_rcp_f32_e32 v6, v4
	v_nop
	s_delay_alu instid0(TRANS32_DEP_1) | instskip(NEXT) | instid1(VALU_DEP_1)
	v_fma_f32 v7, -v4, v6, 1.0
	v_fmac_f32_e32 v6, v7, v6
	v_div_scale_f32 v7, vcc_lo, 0x3df0ce7a, v2, 0x3df0ce7a
	s_delay_alu instid0(VALU_DEP_1) | instskip(NEXT) | instid1(VALU_DEP_1)
	v_mul_f32_e32 v13, v7, v6
	v_fma_f32 v16, -v4, v13, v7
	s_delay_alu instid0(VALU_DEP_1) | instskip(SKIP_1) | instid1(VALU_DEP_2)
	v_fmac_f32_e32 v13, v16, v6
	v_mov_b64_e32 v[16:17], 0xbfca554cbf31eeff
	v_fma_f32 v4, -v4, v13, v7
	s_delay_alu instid0(VALU_DEP_2) | instskip(SKIP_1) | instid1(VALU_DEP_3)
	v_pk_fma_f32 v[16:17], v[8:9], v[16:17], v[20:21] op_sel_hi:[0,1,1]
	v_mov_b64_e32 v[20:21], 0xc571adfac4de2153
	v_div_fmas_f32 v4, v4, v6, v13
	v_mov_b64_e32 v[6:7], 0xc0cd4577c0458000
	s_delay_alu instid0(VALU_DEP_2) | instskip(NEXT) | instid1(VALU_DEP_4)
	v_div_fixup_f32 v2, v4, v2, 0x3df0ce7a
	v_pk_fma_f32 v[16:17], v[8:9], v[16:17], v[20:21] op_sel_hi:[0,1,1]
	v_mov_b64_e32 v[20:21], 0x47253e7c4698a137
	s_delay_alu instid0(VALU_DEP_4) | instskip(NEXT) | instid1(VALU_DEP_1)
	v_pk_add_f32 v[6:7], v[8:9], v[6:7] op_sel_hi:[0,1]
	v_div_scale_f32 v4, null, v7, v7, 0x40cd4577
	s_delay_alu instid0(VALU_DEP_3) | instskip(NEXT) | instid1(VALU_DEP_2)
	v_pk_fma_f32 v[16:17], v[8:9], v[16:17], v[20:21] op_sel_hi:[0,1,1]
	v_rcp_f32_e32 v13, v4
	v_nop
	s_delay_alu instid0(TRANS32_DEP_1) | instskip(NEXT) | instid1(VALU_DEP_1)
	v_fma_f32 v20, -v4, v13, 1.0
	v_fmac_f32_e32 v13, v20, v13
	v_div_scale_f32 v20, vcc_lo, 0x40cd4577, v7, 0x40cd4577
	s_delay_alu instid0(VALU_DEP_1) | instskip(NEXT) | instid1(VALU_DEP_1)
	v_mul_f32_e32 v21, v20, v13
	v_fma_f32 v97, -v4, v21, v20
	s_delay_alu instid0(VALU_DEP_1) | instskip(NEXT) | instid1(VALU_DEP_1)
	v_fmac_f32_e32 v21, v97, v13
	v_fma_f32 v4, -v4, v21, v20
	s_delay_alu instid0(VALU_DEP_1) | instskip(NEXT) | instid1(VALU_DEP_1)
	v_div_fmas_f32 v4, v4, v13, v21
	v_div_fixup_f32 v21, v4, v7, 0x40cd4577
	v_div_scale_f32 v4, null, v6, v6, 0x40458000
	s_delay_alu instid0(VALU_DEP_1) | instskip(SKIP_1) | instid1(TRANS32_DEP_1)
	v_rcp_f32_e32 v7, v4
	v_nop
	v_fma_f32 v13, -v4, v7, 1.0
	s_delay_alu instid0(VALU_DEP_1) | instskip(SKIP_1) | instid1(VALU_DEP_1)
	v_fmac_f32_e32 v7, v13, v7
	v_div_scale_f32 v13, vcc_lo, 0x40458000, v6, 0x40458000
	v_mul_f32_e32 v20, v13, v7
	s_delay_alu instid0(VALU_DEP_1) | instskip(NEXT) | instid1(VALU_DEP_1)
	v_fma_f32 v97, -v4, v20, v13
	v_fmac_f32_e32 v20, v97, v7
	s_delay_alu instid0(VALU_DEP_1) | instskip(NEXT) | instid1(VALU_DEP_1)
	v_fma_f32 v4, -v4, v20, v13
	v_div_fmas_f32 v4, v4, v7, v20
	v_mov_b32_e32 v7, v8
	s_delay_alu instid0(VALU_DEP_2) | instskip(SKIP_2) | instid1(VALU_DEP_1)
	v_div_fixup_f32 v20, v4, v6, 0x40458000
	v_fmaak_f32 v4, s1, v8, 0x437bd497
	s_mov_b32 s1, 0x3268c1ce
	v_fmaak_f32 v4, v8, v4, 0xc5ecca48
	s_delay_alu instid0(VALU_DEP_1) | instskip(SKIP_2) | instid1(VALU_DEP_1)
	v_fmaak_f32 v13, v8, v4, 0x47a08a57
	v_fmaak_f32 v4, s1, v8, 0xb4aff1cc
	s_mov_b32 s1, 0x37afc644
	v_mul_f32_e32 v6, v8, v4
	v_fmaak_f32 v4, s1, v8, 0xba34432f
	s_delay_alu instid0(VALU_DEP_2) | instskip(SKIP_1) | instid1(VALU_DEP_1)
	v_pk_add_f32 v[98:99], v[6:7], v[98:99]
	v_mov_b64_e32 v[6:7], 0x35a5b5f03761bbe5
	v_pk_fma_f32 v[6:7], v[8:9], v[6:7], v[100:101] op_sel_hi:[0,1,1]
	v_mov_b64_e32 v[100:101], 0x399f00d63b7e1663
	s_delay_alu instid0(VALU_DEP_1) | instskip(SKIP_2) | instid1(VALU_DEP_2)
	v_pk_fma_f32 v[6:7], v[8:9], v[6:7], v[100:101] op_sel_hi:[0,1,1]
	v_pk_mul_f32 v[8:9], v[8:9], v[4:5]
	v_mov_b32_e32 v4, 0x3bdb224c
	v_pk_fma_f32 v[0:1], v[0:1], v[8:9], v[2:3] op_sel:[0,1,0]
	s_delay_alu instid0(VALU_DEP_2) | instskip(SKIP_1) | instid1(VALU_DEP_2)
	v_pk_mul_f32 v[4:5], v[4:5], v[8:9]
	v_pk_fma_f32 v[2:3], v[16:17], v[8:9], v[20:21] op_sel:[0,1,0]
	v_mov_b32_e32 v16, v5
	s_delay_alu instid0(VALU_DEP_3) | instskip(SKIP_1) | instid1(VALU_DEP_3)
	v_pk_mul_f32 v[6:7], v[6:7], v[4:5] op_sel:[0,1]
	v_mov_b32_e32 v4, 0x3e8abc3d
	v_pk_mul_f32 v[16:17], v[16:17], v[98:99]
	v_div_scale_f32 v17, null, v99, v99, 0x413cea40
	s_delay_alu instid0(VALU_DEP_1) | instskip(SKIP_1) | instid1(TRANS32_DEP_1)
	v_rcp_f32_e32 v20, v17
	v_nop
	v_fma_f32 v21, -v17, v20, 1.0
	s_delay_alu instid0(VALU_DEP_1) | instskip(SKIP_1) | instid1(VALU_DEP_1)
	v_fmac_f32_e32 v20, v21, v20
	v_div_scale_f32 v21, vcc_lo, 0x413cea40, v99, 0x413cea40
	v_mul_f32_e32 v97, v21, v20
	s_delay_alu instid0(VALU_DEP_1) | instskip(NEXT) | instid1(VALU_DEP_1)
	v_fma_f32 v98, -v17, v97, v21
	v_fmac_f32_e32 v97, v98, v20
	s_delay_alu instid0(VALU_DEP_1) | instskip(SKIP_1) | instid1(VALU_DEP_2)
	v_fma_f32 v17, -v17, v97, v21
	v_mov_b32_e32 v21, v9
	v_div_fmas_f32 v17, v17, v20, v97
	v_mov_b32_e32 v20, 0x3710a439
	s_delay_alu instid0(VALU_DEP_2) | instskip(NEXT) | instid1(VALU_DEP_1)
	v_div_fixup_f32 v17, v17, v99, 0x413cea40
	v_pk_fma_f32 v[16:17], v[12:13], v[20:21], v[16:17]
	v_add_f32_e32 v13, 0x3bdb224c, v8
	v_mov_b64_e32 v[8:9], 0x3ac6b9473d1c8fe4
	s_delay_alu instid0(VALU_DEP_2) | instskip(NEXT) | instid1(VALU_DEP_1)
	v_pk_mul_f32 v[4:5], v[12:13], v[4:5]
	v_add_f32_e32 v5, v4, v5
	s_delay_alu instid0(VALU_DEP_1) | instskip(NEXT) | instid1(VALU_DEP_4)
	v_sub_f32_e32 v4, v12, v5
	v_pk_fma_f32 v[6:7], v[12:13], v[8:9], v[6:7] op_sel_hi:[0,1,1]
	s_delay_alu instid0(VALU_DEP_1) | instskip(NEXT) | instid1(VALU_DEP_1)
	v_sub_f32_e32 v4, v4, v6
	v_sub_f32_e32 v4, v4, v7
	s_delay_alu instid0(VALU_DEP_1)
	v_sub_f32_e32 v4, v4, v16
.LBB0_15:
	s_or_b32 exec_lo, exec_lo, s0
                                        ; implicit-def: $vgpr8
.LBB0_16:
	s_and_not1_saveexec_b32 s1, s14
	s_cbranch_execz .LBB0_18
; %bb.17:
	v_div_scale_f32 v0, null, v8, v8, 0x3f490fdb
	s_delay_alu instid0(VALU_DEP_1) | instskip(SKIP_1) | instid1(TRANS32_DEP_1)
	v_rcp_f32_e32 v1, v0
	v_nop
	v_fma_f32 v2, -v0, v1, 1.0
	s_delay_alu instid0(VALU_DEP_1) | instskip(SKIP_1) | instid1(VALU_DEP_1)
	v_fmac_f32_e32 v1, v2, v1
	v_div_scale_f32 v2, vcc_lo, 0x3f490fdb, v8, 0x3f490fdb
	v_mul_f32_e32 v3, v2, v1
	s_delay_alu instid0(VALU_DEP_1) | instskip(NEXT) | instid1(VALU_DEP_1)
	v_fma_f32 v4, -v0, v3, v2
	v_fmac_f32_e32 v3, v4, v1
	v_mov_b64_e32 v[4:5], 0x3a909d0738fb7e46
	s_delay_alu instid0(VALU_DEP_2) | instskip(NEXT) | instid1(VALU_DEP_1)
	v_fma_f32 v0, -v0, v3, v2
	v_div_fmas_f32 v0, v0, v1, v3
	s_delay_alu instid0(VALU_DEP_1) | instskip(NEXT) | instid1(VALU_DEP_1)
	v_div_fixup_f32 v0, v0, v8, 0x3f490fdb
	v_cmp_gt_f32_e32 vcc_lo, 0xf800000, v0
	v_mul_f32_e32 v1, 0x4f800000, v0
	s_delay_alu instid0(VALU_DEP_1) | instskip(NEXT) | instid1(VALU_DEP_1)
	v_cndmask_b32_e32 v0, v0, v1, vcc_lo
	v_sqrt_f32_e32 v1, v0
	v_nop
	s_delay_alu instid0(TRANS32_DEP_1) | instskip(NEXT) | instid1(VALU_DEP_1)
	v_add_nc_u32_e32 v2, -1, v1
	v_fma_f32 v3, -v2, v1, v0
	s_delay_alu instid0(VALU_DEP_1) | instskip(NEXT) | instid1(VALU_DEP_1)
	v_cmp_ge_f32_e64 s0, 0, v3
	v_dual_add_nc_u32 v3, 1, v1 :: v_dual_cndmask_b32 v2, v1, v2, s0
	s_delay_alu instid0(VALU_DEP_1) | instskip(NEXT) | instid1(VALU_DEP_1)
	v_fma_f32 v1, -v3, v1, v0
	v_cmp_lt_f32_e64 s0, 0, v1
	s_delay_alu instid0(VALU_DEP_1) | instskip(SKIP_1) | instid1(VALU_DEP_1)
	v_cndmask_b32_e64 v1, v2, v3, s0
	s_mov_b32 s0, 0xb81698a2
	v_mul_f32_e32 v2, 0x37800000, v1
	s_delay_alu instid0(VALU_DEP_1) | instskip(SKIP_1) | instid1(VALU_DEP_2)
	v_cndmask_b32_e32 v1, v1, v2, vcc_lo
	v_cmp_class_f32_e64 vcc_lo, v0, 0x260
	v_cndmask_b32_e32 v12, v1, v0, vcc_lo
	v_mul_f32_e32 v0, 0xbfb8aa3b, v8
	v_cmp_nlt_f32_e32 vcc_lo, 0x42ce8ed0, v8
	s_delay_alu instid0(VALU_DEP_2) | instskip(NEXT) | instid1(VALU_DEP_1)
	v_rndne_f32_e32 v1, v0
	v_sub_f32_e32 v2, v0, v1
	v_fma_f32 v0, 0xbfb8aa3b, v8, -v0
	v_cvt_i32_f32_e32 v1, v1
	s_delay_alu instid0(VALU_DEP_2) | instskip(NEXT) | instid1(VALU_DEP_1)
	v_fmamk_f32 v0, v8, 0xb2a5705f, v0
	v_add_f32_e32 v0, v2, v0
	v_mov_b64_e32 v[2:3], 0xb7864dc2b5e8af67
	s_delay_alu instid0(VALU_DEP_2) | instskip(NEXT) | instid1(VALU_DEP_1)
	v_exp_f32_e32 v0, v0
	v_pk_fma_f32 v[2:3], v[8:9], v[2:3], v[4:5] op_sel_hi:[0,1,1]
	v_mov_b64_e32 v[4:5], 0xbe19a50cbc829c7e
	s_delay_alu instid0(TRANS32_DEP_1) | instskip(NEXT) | instid1(VALU_DEP_2)
	v_ldexp_f32 v0, v0, v1
	v_pk_fma_f32 v[2:3], v[8:9], v[2:3], v[4:5] op_sel_hi:[0,1,1]
	v_mov_b64_e32 v[4:5], 0x4128e6de3f913d29
	s_delay_alu instid0(VALU_DEP_3) | instskip(SKIP_1) | instid1(VALU_DEP_3)
	v_cndmask_b32_e32 v0, 0, v0, vcc_lo
	v_cmp_ngt_f32_e32 vcc_lo, 0xc2b17218, v8
	v_pk_fma_f32 v[2:3], v[8:9], v[2:3], v[4:5] op_sel_hi:[0,1,1]
	v_mov_b64_e32 v[4:5], 0xc3cd3c02c232e2f7
	s_delay_alu instid0(VALU_DEP_4) | instskip(SKIP_1) | instid1(VALU_DEP_3)
	v_cndmask_b32_e32 v20, 0x7f800000, v0, vcc_lo
	v_mov_b64_e32 v[0:1], 0xbf898b3fbdf0ce7a
	v_pk_fma_f32 v[2:3], v[8:9], v[2:3], v[4:5] op_sel_hi:[0,1,1]
	v_mov_b64_e32 v[4:5], 0x4616682d4484d064
	s_delay_alu instid0(VALU_DEP_3) | instskip(NEXT) | instid1(VALU_DEP_2)
	v_pk_add_f32 v[0:1], v[8:9], v[0:1] op_sel_hi:[0,1]
	v_pk_fma_f32 v[2:3], v[8:9], v[2:3], v[4:5] op_sel_hi:[0,1,1]
	v_mov_b64_e32 v[4:5], 0xc804b404c66d9d91
	s_delay_alu instid0(VALU_DEP_1) | instskip(SKIP_1) | instid1(VALU_DEP_1)
	v_pk_fma_f32 v[2:3], v[8:9], v[2:3], v[4:5] op_sel_hi:[0,1,1]
	v_mov_b64_e32 v[4:5], 0x4981869e47ebab72
	v_pk_fma_f32 v[2:3], v[8:9], v[2:3], v[4:5] op_sel_hi:[0,1,1]
	v_mov_b64_e32 v[4:5], 0xca565990c8c6d24c
	s_delay_alu instid0(VALU_DEP_1) | instskip(SKIP_1) | instid1(VALU_DEP_1)
	v_pk_fma_f32 v[2:3], v[8:9], v[2:3], v[4:5] op_sel_hi:[0,1,1]
	v_div_scale_f32 v4, null, v1, v1, 0x3f898b3f
	v_rcp_f32_e32 v5, v4
	v_nop
	s_delay_alu instid0(TRANS32_DEP_1) | instskip(NEXT) | instid1(VALU_DEP_1)
	v_fma_f32 v6, -v4, v5, 1.0
	v_fmac_f32_e32 v5, v6, v5
	v_div_scale_f32 v6, vcc_lo, 0x3f898b3f, v1, 0x3f898b3f
	s_delay_alu instid0(VALU_DEP_1) | instskip(NEXT) | instid1(VALU_DEP_1)
	v_mul_f32_e32 v7, v6, v5
	v_fma_f32 v9, -v4, v7, v6
	s_delay_alu instid0(VALU_DEP_1) | instskip(NEXT) | instid1(VALU_DEP_1)
	v_fmac_f32_e32 v7, v9, v5
	v_fma_f32 v4, -v4, v7, v6
	s_delay_alu instid0(VALU_DEP_1) | instskip(NEXT) | instid1(VALU_DEP_1)
	v_div_fmas_f32 v4, v4, v5, v7
	v_div_fixup_f32 v1, v4, v1, 0x3f898b3f
	v_div_scale_f32 v4, null, v0, v0, 0x3df0ce7a
	s_delay_alu instid0(VALU_DEP_1) | instskip(SKIP_1) | instid1(TRANS32_DEP_1)
	v_rcp_f32_e32 v5, v4
	v_nop
	v_fma_f32 v6, -v4, v5, 1.0
	s_delay_alu instid0(VALU_DEP_1) | instskip(SKIP_1) | instid1(VALU_DEP_1)
	v_fmac_f32_e32 v5, v6, v5
	v_div_scale_f32 v6, vcc_lo, 0x3df0ce7a, v0, 0x3df0ce7a
	v_mul_f32_e32 v7, v6, v5
	s_delay_alu instid0(VALU_DEP_1) | instskip(NEXT) | instid1(VALU_DEP_1)
	v_fma_f32 v9, -v4, v7, v6
	v_fmac_f32_e32 v7, v9, v5
	s_delay_alu instid0(VALU_DEP_1) | instskip(NEXT) | instid1(VALU_DEP_1)
	v_fma_f32 v4, -v4, v7, v6
	v_div_fmas_f32 v4, v4, v5, v7
	v_mov_b64_e32 v[6:7], 0xbb16400c3b304eed
	s_delay_alu instid0(VALU_DEP_2) | instskip(SKIP_1) | instid1(VALU_DEP_2)
	v_div_fixup_f32 v0, v4, v0, 0x3df0ce7a
	v_mov_b64_e32 v[4:5], 0xb885e8a0b83c4620
	v_pk_fma_f32 v[0:1], v[20:21], v[2:3], v[0:1] op_sel_hi:[0,1,1]
	v_mov_b64_e32 v[2:3], 0xc0cd4577c0458000
	s_delay_alu instid0(VALU_DEP_3) | instskip(SKIP_1) | instid1(VALU_DEP_3)
	v_pk_fma_f32 v[4:5], v[8:9], v[4:5], v[6:7] op_sel_hi:[0,1,1]
	v_mov_b64_e32 v[6:7], 0xbd9cd29ebecd562e
	v_pk_add_f32 v[2:3], v[8:9], v[2:3] op_sel_hi:[0,1]
	s_delay_alu instid0(VALU_DEP_2) | instskip(SKIP_1) | instid1(VALU_DEP_1)
	v_pk_fma_f32 v[4:5], v[8:9], v[4:5], v[6:7] op_sel_hi:[0,1,1]
	v_mov_b64_e32 v[6:7], 0x411207e141deb022
	v_pk_fma_f32 v[4:5], v[8:9], v[4:5], v[6:7] op_sel_hi:[0,1,1]
	v_mov_b64_e32 v[6:7], 0xc36813b9c4831d5a
	s_delay_alu instid0(VALU_DEP_1) | instskip(SKIP_1) | instid1(VALU_DEP_1)
	v_pk_fma_f32 v[4:5], v[8:9], v[4:5], v[6:7] op_sel_hi:[0,1,1]
	v_mov_b64_e32 v[6:7], 0x438ceb7746b92530
	v_pk_fma_f32 v[4:5], v[8:9], v[4:5], v[6:7] op_sel_hi:[0,1,1]
	v_mov_b64_e32 v[6:7], 0x47bb687cc89c0214
	s_delay_alu instid0(VALU_DEP_1) | instskip(SKIP_1) | instid1(VALU_DEP_1)
	;; [unrolled: 5-line block ×3, first 2 shown]
	v_pk_fma_f32 v[4:5], v[8:9], v[4:5], v[6:7] op_sel_hi:[0,1,1]
	v_div_scale_f32 v6, null, v3, v3, 0x40cd4577
	v_rcp_f32_e32 v7, v6
	v_nop
	s_delay_alu instid0(TRANS32_DEP_1) | instskip(NEXT) | instid1(VALU_DEP_1)
	v_fma_f32 v9, -v6, v7, 1.0
	v_fmac_f32_e32 v7, v9, v7
	v_div_scale_f32 v9, vcc_lo, 0x40cd4577, v3, 0x40cd4577
	s_delay_alu instid0(VALU_DEP_1) | instskip(NEXT) | instid1(VALU_DEP_1)
	v_mul_f32_e32 v13, v9, v7
	v_fma_f32 v16, -v6, v13, v9
	s_delay_alu instid0(VALU_DEP_1) | instskip(NEXT) | instid1(VALU_DEP_1)
	v_fmac_f32_e32 v13, v16, v7
	v_fma_f32 v6, -v6, v13, v9
	s_delay_alu instid0(VALU_DEP_1) | instskip(NEXT) | instid1(VALU_DEP_1)
	v_div_fmas_f32 v6, v6, v7, v13
	v_div_fixup_f32 v3, v6, v3, 0x40cd4577
	v_div_scale_f32 v6, null, v2, v2, 0x40458000
	s_delay_alu instid0(VALU_DEP_1) | instskip(SKIP_1) | instid1(TRANS32_DEP_1)
	v_rcp_f32_e32 v7, v6
	v_nop
	v_fma_f32 v9, -v6, v7, 1.0
	s_delay_alu instid0(VALU_DEP_1) | instskip(SKIP_1) | instid1(VALU_DEP_1)
	v_fmac_f32_e32 v7, v9, v7
	v_div_scale_f32 v9, vcc_lo, 0x40458000, v2, 0x40458000
	v_mul_f32_e32 v13, v9, v7
	s_delay_alu instid0(VALU_DEP_1) | instskip(NEXT) | instid1(VALU_DEP_1)
	v_fma_f32 v16, -v6, v13, v9
	v_fmac_f32_e32 v13, v16, v7
	s_delay_alu instid0(VALU_DEP_1) | instskip(NEXT) | instid1(VALU_DEP_1)
	v_fma_f32 v6, -v6, v13, v9
	v_div_fmas_f32 v6, v6, v7, v13
	s_delay_alu instid0(VALU_DEP_1) | instskip(NEXT) | instid1(VALU_DEP_1)
	v_div_fixup_f32 v2, v6, v2, 0x40458000
	v_pk_fma_f32 v[2:3], v[20:21], v[4:5], v[2:3] op_sel_hi:[0,1,1]
	v_fmaak_f32 v4, s0, v8, 0xbcb91c15
	s_mov_b32 s0, 0xaffd7e2f
	s_delay_alu instid0(VALU_DEP_1) | instskip(NEXT) | instid1(VALU_DEP_1)
	v_fmaak_f32 v4, v8, v4, 0x3f901f16
	v_fmaak_f32 v4, v8, v4, 0xc236b374
	s_delay_alu instid0(VALU_DEP_1) | instskip(NEXT) | instid1(VALU_DEP_1)
	v_fmaak_f32 v4, v8, v4, 0x44844173
	v_fmaak_f32 v4, v8, v4, 0xc6354148
	;; [unrolled: 3-line block ×3, first 2 shown]
	s_delay_alu instid0(VALU_DEP_1) | instskip(SKIP_1) | instid1(VALU_DEP_1)
	v_fmaak_f32 v5, v8, v4, 0xcb75f75e
	v_add_f32_e32 v4, 0xc13cea40, v8
	v_div_scale_f32 v6, null, v4, v4, 0x413cea40
	s_delay_alu instid0(VALU_DEP_1) | instskip(SKIP_1) | instid1(TRANS32_DEP_1)
	v_rcp_f32_e32 v7, v6
	v_nop
	v_fma_f32 v9, -v6, v7, 1.0
	s_delay_alu instid0(VALU_DEP_1) | instskip(SKIP_1) | instid1(VALU_DEP_1)
	v_fmac_f32_e32 v7, v9, v7
	v_div_scale_f32 v9, vcc_lo, 0x413cea40, v4, 0x413cea40
	v_mul_f32_e32 v13, v9, v7
	s_delay_alu instid0(VALU_DEP_1) | instskip(NEXT) | instid1(VALU_DEP_1)
	v_fma_f32 v16, -v6, v13, v9
	v_fmac_f32_e32 v13, v16, v7
	s_delay_alu instid0(VALU_DEP_1) | instskip(NEXT) | instid1(VALU_DEP_1)
	v_fma_f32 v6, -v6, v13, v9
	v_div_fmas_f32 v6, v6, v7, v13
	v_mov_b32_e32 v13, v20
	s_delay_alu instid0(VALU_DEP_2) | instskip(SKIP_2) | instid1(VALU_DEP_1)
	v_div_fixup_f32 v7, v6, v4, 0x413cea40
	v_fmaak_f32 v4, s0, v8, 0x34199ec3
	s_mov_b32 s0, 0xb2ced85b
	v_fmaak_f32 v4, v8, v4, 0xb7898a57
	s_delay_alu instid0(VALU_DEP_1) | instskip(NEXT) | instid1(VALU_DEP_1)
	v_fmaak_f32 v4, v8, v4, 0x3a97c510
	v_fmaak_f32 v4, v8, v4, 0xbd5952a9
	s_delay_alu instid0(VALU_DEP_1) | instskip(NEXT) | instid1(VALU_DEP_1)
	v_fmaak_f32 v4, v8, v4, 0x3fce47c6
	v_fmaak_f32 v4, v8, v4, 0xc2014c9c
	s_delay_alu instid0(VALU_DEP_1) | instskip(NEXT) | instid1(VALU_DEP_1)
	v_fmaak_f32 v4, v8, v4, 0x43ce00f0
	v_fmaak_f32 v4, v8, v4, 0xc53ce99c
	s_delay_alu instid0(VALU_DEP_1) | instskip(NEXT) | instid1(VALU_DEP_1)
	v_fmaak_f32 v4, v8, v4, 0x4617cf01
	v_mul_f32_e32 v6, v20, v4
	v_mov_b32_e32 v4, 0x3710a439
	s_delay_alu instid0(VALU_DEP_1) | instskip(SKIP_4) | instid1(VALU_DEP_1)
	v_pk_fma_f32 v[16:17], v[12:13], v[4:5], v[6:7]
	v_mov_b64_e32 v[6:7], 0xba6d1b64bacaf300
	v_fmaak_f32 v5, s0, v8, 0x370855d6
	v_mov_b32_e32 v4, 0x3799fe51
	s_mov_b32 s0, 0x37e90472
	v_pk_fma_f32 v[4:5], v[8:9], v[4:5], v[6:7] op_sel_hi:[0,1,1]
	v_mov_b64_e32 v[6:7], 0x3d8299223df2bada
	s_delay_alu instid0(VALU_DEP_1) | instskip(SKIP_1) | instid1(VALU_DEP_1)
	v_pk_fma_f32 v[4:5], v[8:9], v[4:5], v[6:7] op_sel_hi:[0,1,1]
	v_mov_b64_e32 v[6:7], 0xc03d86e0c0d649ba
	v_pk_fma_f32 v[4:5], v[8:9], v[4:5], v[6:7] op_sel_hi:[0,1,1]
	v_mov_b64_e32 v[6:7], 0x42b7074a4374ca15
	s_delay_alu instid0(VALU_DEP_1) | instskip(SKIP_1) | instid1(VALU_DEP_1)
	v_pk_fma_f32 v[4:5], v[8:9], v[4:5], v[6:7] op_sel_hi:[0,1,1]
	v_mov_b64_e32 v[6:7], 0xc4e9b6ffc5b1c29d
	;; [unrolled: 5-line block ×3, first 2 shown]
	v_pk_fma_f32 v[4:5], v[8:9], v[4:5], v[6:7] op_sel_hi:[0,1,1]
	v_mov_b64_e32 v[6:7], 0x4911b76c4a0a30b4
	s_delay_alu instid0(VALU_DEP_1) | instskip(SKIP_1) | instid1(VALU_DEP_2)
	v_pk_fma_f32 v[4:5], v[8:9], v[4:5], v[6:7] op_sel_hi:[0,1,1]
	v_mov_b64_e32 v[6:7], 0x3ac6b9473d1c8fe4
	v_pk_mul_f32 v[4:5], v[20:21], v[4:5] op_sel_hi:[0,1]
	v_mov_b32_e32 v21, v12
	s_delay_alu instid0(VALU_DEP_2) | instskip(SKIP_1) | instid1(VALU_DEP_1)
	v_pk_fma_f32 v[6:7], v[12:13], v[6:7], v[4:5] op_sel_hi:[0,1,1]
	v_fmaak_f32 v4, s0, v8, 0xbb120983
	v_fmaak_f32 v4, v8, v4, 0x3e24f189
	s_delay_alu instid0(VALU_DEP_1) | instskip(NEXT) | instid1(VALU_DEP_1)
	v_fmaak_f32 v4, v8, v4, 0xc10f7aa0
	v_fmaak_f32 v4, v8, v4, 0x43a40806
	s_delay_alu instid0(VALU_DEP_1) | instskip(NEXT) | instid1(VALU_DEP_1)
	;; [unrolled: 3-line block ×3, first 2 shown]
	v_fmaak_f32 v4, v8, v4, 0xc959e702
	v_fmaak_f32 v8, v8, v4, 0x4a3d9949
	v_mov_b64_e32 v[4:5], 0x3e8abc3d3ca0ba1f
	s_delay_alu instid0(VALU_DEP_1) | instskip(NEXT) | instid1(VALU_DEP_1)
	v_pk_mul_f32 v[4:5], v[20:21], v[4:5]
	v_sub_f32_e32 v4, v12, v4
	s_delay_alu instid0(VALU_DEP_2) | instskip(NEXT) | instid1(VALU_DEP_1)
	v_fmac_f32_e32 v5, v20, v8
	v_sub_f32_e32 v4, v4, v5
	s_delay_alu instid0(VALU_DEP_1) | instskip(NEXT) | instid1(VALU_DEP_1)
	v_sub_f32_e32 v4, v4, v6
	v_sub_f32_e32 v4, v4, v7
	s_delay_alu instid0(VALU_DEP_1)
	v_sub_f32_e32 v4, v4, v16
.LBB0_18:
	s_or_b32 exec_lo, exec_lo, s1
                                        ; implicit-def: $vgpr8
.LBB0_19:
	s_and_not1_saveexec_b32 s0, s13
	s_cbranch_execz .LBB0_21
; %bb.20:
	v_add_f32_e32 v8, 0xc1b40000, v8
	s_mov_b32 s1, 0x25a7199c
	s_mov_b32 s2, 0x26a42ff5
	v_mov_b32_e32 v0, 0x26a42ff5
	v_mov_b32_e32 v2, 0x280532ff
	v_fmaak_f32 v1, s1, v8, 0xa85c4f36
	v_mov_b32_e32 v3, 0x298b40b5
	v_mov_b64_e32 v[12:13], s[2:3]
	v_mov_b64_e32 v[4:5], 0x2870bf87270e00c0
	;; [unrolled: 1-line block ×4, first 2 shown]
	v_pk_fma_f32 v[0:1], v[8:9], v[0:1], v[2:3] op_sel_hi:[0,1,1]
	v_mov_b64_e32 v[20:21], 0xab53bedb29ffe8d7
	v_mov_b64_e32 v[98:99], 0x334643383174cec8
	v_pk_fma_f32 v[2:3], v[8:9], v[12:13], v[2:3] neg_lo:[1,0,0] neg_hi:[1,0,0]
	v_mov_b64_e32 v[12:13], 0x2e2329ea2ccce59f
	v_mov_b32_e32 v3, v1
	v_pk_fma_f32 v[4:5], v[8:9], v[4:5], v[6:7] op_sel_hi:[0,1,1]
	v_mov_b64_e32 v[0:1], 0xadf01bb1ac3c5b33
	v_mov_b64_e32 v[6:7], 0x2e0d27fe2d04c115
	v_mov_b64_e32 v[102:103], 0x35f880c43490f41d
	v_pk_fma_f32 v[2:3], v[8:9], v[2:3], v[16:17] op_sel_hi:[0,1,1]
	v_pk_fma_f32 v[4:5], v[8:9], v[4:5], v[20:21] op_sel_hi:[0,1,1]
	v_mov_b64_e32 v[20:21], 0xaf6436c9aed3e3de
	v_mov_b64_e32 v[16:17], 0x311850d72f6ee295
	;; [unrolled: 1-line block ×3, first 2 shown]
	v_pk_fma_f32 v[0:1], v[8:9], v[2:3], v[0:1] op_sel_hi:[0,1,1]
	v_pk_fma_f32 v[4:5], v[8:9], v[4:5], v[6:7] op_sel_hi:[0,1,1]
	v_mov_b64_e32 v[6:7], 0xb10e49f5aeb66e22
	v_mov_b64_e32 v[2:3], 0xb65f0e7fb4a314f8
	s_mov_b32 s1, 0x9dd50ccf
	v_pk_fma_f32 v[0:1], v[8:9], v[0:1], v[12:13] op_sel_hi:[0,1,1]
	v_pk_fma_f32 v[4:5], v[8:9], v[4:5], v[20:21] op_sel_hi:[0,1,1]
	v_mov_b64_e32 v[20:21], 0x31fb9e3432016f5d
	v_mov_b64_e32 v[12:13], 0xbb16cb0db9721ce0
	;; [unrolled: 1-line block ×3, first 2 shown]
	v_pk_fma_f32 v[0:1], v[8:9], v[0:1], v[16:17] op_sel_hi:[0,1,1]
	v_pk_fma_f32 v[4:5], v[8:9], v[4:5], v[6:7] op_sel_hi:[0,1,1]
	v_mov_b32_e32 v9, 0xa990e2e4
	v_mov_b64_e32 v[6:7], 0x27c704262823fdf6
	v_mov_b64_e32 v[16:17], 0xb885b2dab76fe272
	;; [unrolled: 1-line block ×3, first 2 shown]
	s_delay_alu instid0(VALU_DEP_4)
	v_pk_fma_f32 v[4:5], v[8:9], v[4:5], v[20:21] op_sel_hi:[0,1,1]
	v_pk_fma_f32 v[0:1], v[8:9], v[0:1], v[98:99] op_sel_hi:[0,1,1]
	v_mov_b32_e32 v98, 0x29e22b1a
	v_pk_fma_f32 v[112:113], v[8:9], v[6:7], v[8:9] op_sel_hi:[0,1,1]
	v_mov_b64_e32 v[20:21], 0x3ab34cf139c6555a
	v_pk_fma_f32 v[4:5], v[8:9], v[4:5], v[102:103] op_sel_hi:[0,1,1]
	v_pk_fma_f32 v[0:1], v[8:9], v[0:1], v[2:3] op_sel_hi:[0,1,1]
	v_mov_b64_e32 v[2:3], 0xaa84c8f22b5c09f0
	v_pk_fma_f32 v[6:7], v[8:9], v[6:7], v[98:99] neg_lo:[1,0,0] neg_hi:[1,0,0]
	v_mov_b32_e32 v7, v113
	v_pk_fma_f32 v[4:5], v[8:9], v[4:5], v[16:17] op_sel_hi:[0,1,1]
	v_pk_fma_f32 v[0:1], v[8:9], v[0:1], v[100:101] op_sel_hi:[0,1,1]
	v_mov_b64_e32 v[16:17], 0x2d1155b5ade0174a
	v_mov_b64_e32 v[98:99], 0xbcc649cdbc0395d7
	v_pk_fma_f32 v[2:3], v[8:9], v[6:7], v[2:3] op_sel_hi:[0,1,1]
	v_pk_fma_f32 v[4:5], v[8:9], v[4:5], v[20:21] op_sel_hi:[0,1,1]
	;; [unrolled: 1-line block ×3, first 2 shown]
	v_mov_b64_e32 v[12:13], 0x2ecaf6492f22a733
	v_mov_b64_e32 v[102:103], 0xa8199a3da966819a
	v_pk_fma_f32 v[2:3], v[8:9], v[2:3], v[16:17] op_sel_hi:[0,1,1]
	v_pk_fma_f32 v[4:5], v[8:9], v[4:5], v[98:99] op_sel_hi:[0,1,1]
	v_fmaak_f32 v9, s1, v8, 0x1fa36fde
	v_mov_b64_e32 v[16:17], 0xb1c3336530d156bc
	s_mov_b32 s1, 0xa21e6225
	v_mov_b32_e32 v98, 0x241ad803
	v_fmaak_f32 v97, s1, v8, 0xa2352a85
	v_pk_fma_f32 v[2:3], v[8:9], v[2:3], v[12:13] op_sel_hi:[0,1,1]
	v_fmaak_f32 v12, v8, v9, 0xa1ea30d0
	v_mov_b32_e32 v13, 0x2988b248
	v_mov_b32_e32 v9, 0x2b92ff2d
	v_mov_b64_e32 v[112:113], 0xaaf150aca60aa5a4
	v_mov_b64_e32 v[6:7], 0x3d4d256d3babec00
	;; [unrolled: 1-line block ×3, first 2 shown]
	s_delay_alu instid0(VALU_DEP_4) | instskip(SKIP_3) | instid1(VALU_DEP_4)
	v_pk_fma_f32 v[100:101], v[8:9], v[12:13], v[8:9] op_sel_hi:[0,1,1] neg_lo:[1,0,0] neg_hi:[1,0,0]
	v_pk_fma_f32 v[12:13], v[8:9], v[12:13], v[98:99]
	v_pk_fma_f32 v[2:3], v[8:9], v[2:3], v[16:17] op_sel_hi:[0,1,1]
	v_fmaak_f32 v17, v8, v97, 0x26309378
	v_dual_mov_b32 v16, 0x278feb72 :: v_dual_mov_b32 v13, v101
	v_mov_b64_e32 v[100:101], 0x29595f53a93b3dc9
	v_mov_b64_e32 v[98:99], 0x34038277321e1132
	v_pk_fma_f32 v[0:1], v[8:9], v[0:1], v[6:7] op_sel_hi:[0,1,1]
	s_delay_alu instid0(VALU_DEP_4) | instskip(SKIP_3) | instid1(VALU_DEP_4)
	v_pk_fma_f32 v[16:17], v[8:9], v[16:17], v[102:103] op_sel_hi:[0,1,1]
	v_pk_fma_f32 v[12:13], v[8:9], v[12:13], v[112:113] op_sel_hi:[0,1,1]
	v_mov_b64_e32 v[112:113], 0xaabf26ea2c944a61
	v_mov_b64_e32 v[102:103], 0xb60e3784b613414a
	v_pk_fma_f32 v[16:17], v[8:9], v[16:17], v[100:101] op_sel_hi:[0,1,1]
	s_delay_alu instid0(VALU_DEP_4)
	v_pk_fma_f32 v[12:13], v[8:9], v[12:13], v[114:115] op_sel_hi:[0,1,1]
	v_pk_fma_f32 v[2:3], v[8:9], v[2:3], v[98:99] op_sel_hi:[0,1,1]
	v_mov_b64_e32 v[98:99], 0x2d92f4ff2e937513
	v_mov_b64_e32 v[100:101], 0xb29daef12b6d9da4
	v_pk_fma_f32 v[16:17], v[8:9], v[16:17], v[112:113] op_sel_hi:[0,1,1]
	v_pk_fma_f32 v[12:13], v[8:9], v[12:13], v[116:117] op_sel_hi:[0,1,1]
	;; [unrolled: 1-line block ×3, first 2 shown]
	v_mov_b64_e32 v[102:103], 0xaff35c8bb166f4f2
	v_mov_b64_e32 v[112:113], 0xb58f5e3aad508416
	v_pk_fma_f32 v[16:17], v[8:9], v[16:17], v[98:99] op_sel_hi:[0,1,1]
	v_pk_fma_f32 v[12:13], v[8:9], v[12:13], v[100:101] op_sel_hi:[0,1,1]
	v_mov_b64_e32 v[100:101], 0x31e8bded3382731e
	v_mov_b64_e32 v[114:115], 0x380a161b2f15dc29
	;; [unrolled: 1-line block ×3, first 2 shown]
	v_pk_fma_f32 v[16:17], v[8:9], v[16:17], v[102:103] op_sel_hi:[0,1,1]
	v_pk_fma_f32 v[12:13], v[8:9], v[12:13], v[112:113] op_sel_hi:[0,1,1]
	v_mov_b64_e32 v[112:113], 0xb397147ab546d701
	v_mov_b64_e32 v[116:117], 0xba1becb6b0a1f62f
	;; [unrolled: 1-line block ×3, first 2 shown]
	v_pk_fma_f32 v[16:17], v[8:9], v[16:17], v[100:101] op_sel_hi:[0,1,1]
	v_pk_fma_f32 v[12:13], v[8:9], v[12:13], v[114:115] op_sel_hi:[0,1,1]
	;; [unrolled: 1-line block ×3, first 2 shown]
	v_mov_b64_e32 v[98:99], 0x352266d337145716
	v_mov_b64_e32 v[100:101], 0x3c07e2cf320613b4
	v_pk_fma_f32 v[16:17], v[8:9], v[16:17], v[112:113] op_sel_hi:[0,1,1]
	v_pk_fma_f32 v[12:13], v[8:9], v[12:13], v[116:117] op_sel_hi:[0,1,1]
	;; [unrolled: 1-line block ×3, first 2 shown]
	v_mov_b64_e32 v[2:3], 0xb702f496b934f107
	v_mov_b64_e32 v[112:113], 0xbdcb6439b3805e9c
	v_pk_fma_f32 v[16:17], v[8:9], v[16:17], v[98:99] op_sel_hi:[0,1,1]
	v_pk_fma_f32 v[12:13], v[8:9], v[12:13], v[100:101] op_sel_hi:[0,1,1]
	v_mov_b64_e32 v[98:99], 0x3d4f819f3e03cebc
	v_mov_b64_e32 v[100:101], 0x3995ec343bead41b
	;; [unrolled: 1-line block ×3, first 2 shown]
	v_pk_fma_f32 v[16:17], v[8:9], v[16:17], v[2:3] op_sel_hi:[0,1,1]
	v_pk_fma_f32 v[12:13], v[8:9], v[12:13], v[112:113] op_sel_hi:[0,1,1]
	;; [unrolled: 1-line block ×4, first 2 shown]
	s_delay_alu instid0(VALU_DEP_4) | instskip(NEXT) | instid1(VALU_DEP_4)
	v_pk_fma_f32 v[6:7], v[8:9], v[16:17], v[100:101] op_sel_hi:[0,1,1]
	v_pk_fma_f32 v[16:17], v[8:9], v[12:13], v[114:115] op_sel_hi:[0,1,1]
.LBB0_21:
	s_or_b32 exec_lo, exec_lo, s0
                                        ; implicit-def: $vgpr8
.LBB0_22:
	s_and_not1_saveexec_b32 s0, s12
	s_cbranch_execz .LBB0_24
; %bb.23:
	v_mov_b64_e32 v[0:1], 0x27121e07255d37bb
	v_mov_b64_e32 v[2:3], 0x283719822661d98f
	v_add_f32_e32 v8, 0xc18c0000, v8
	v_mov_b64_e32 v[4:5], 0xaabe943ba912db57
	s_mov_b32 s1, 0xa752b1bb
	v_mov_b64_e32 v[12:13], 0x2b08c8032987366b
	v_mov_b32_e32 v6, 0x280c7c45
	v_fmaak_f32 v7, s1, v8, 0x28aee06f
	v_pk_fma_f32 v[0:1], v[8:9], v[0:1], v[2:3] op_sel_hi:[0,1,1]
	v_mov_b64_e32 v[2:3], 0xabe36223aa059dcc
	v_mov_b64_e32 v[20:21], 0xac62646aabafe40f
	;; [unrolled: 1-line block ×4, first 2 shown]
	v_pk_fma_f32 v[0:1], v[8:9], v[0:1], v[4:5] op_sel_hi:[0,1,1]
	v_pk_fma_f32 v[4:5], v[8:9], v[6:7], v[12:13] op_sel_hi:[0,1,1]
	v_mov_b64_e32 v[6:7], 0x2fd3db982e13a518
	v_mov_b64_e32 v[100:101], 0x3045aa452f47878a
	;; [unrolled: 1-line block ×3, first 2 shown]
	v_pk_fma_f32 v[0:1], v[8:9], v[0:1], v[2:3] op_sel_hi:[0,1,1]
	v_pk_fma_f32 v[2:3], v[8:9], v[4:5], v[20:21] op_sel_hi:[0,1,1]
	v_mov_b64_e32 v[102:103], 0xb41b055fb345b8ac
	v_mov_b64_e32 v[4:5], 0x3410ba0f325384e4
	;; [unrolled: 1-line block ×3, first 2 shown]
	v_pk_fma_f32 v[0:1], v[8:9], v[0:1], v[16:17] op_sel_hi:[0,1,1]
	v_pk_fma_f32 v[2:3], v[8:9], v[2:3], v[98:99] op_sel_hi:[0,1,1]
	v_mov_b64_e32 v[98:99], 0x31ec892130f2c595
	v_mov_b64_e32 v[16:17], 0x392278213773f8e9
	s_mov_b32 s1, 0x2376df6b
	v_pk_fma_f32 v[0:1], v[8:9], v[0:1], v[6:7] op_sel_hi:[0,1,1]
	v_mov_b64_e32 v[6:7], 0x26a0414f26fbf950
	v_pk_fma_f32 v[2:3], v[8:9], v[2:3], v[100:101] op_sel_hi:[0,1,1]
	v_mov_b32_e32 v9, 0x27054fe0
	v_mov_b64_e32 v[100:101], 0x36388282351d68cd
	s_mov_b32 s2, 0x2688e20b
	v_mov_b64_e32 v[114:115], 0x308275ad2a52e305
	v_mov_b64_e32 v[116:117], 0xb1ab585eac136bf7
	v_pk_fma_f32 v[2:3], v[8:9], v[2:3], v[98:99] op_sel_hi:[0,1,1]
	v_mov_b32_e32 v98, 0xa6488387
	v_pk_fma_f32 v[112:113], v[8:9], v[6:7], v[8:9] op_sel_hi:[0,1,1] neg_lo:[1,0,0] neg_hi:[1,0,0]
	s_delay_alu instid0(VALU_DEP_2) | instskip(NEXT) | instid1(VALU_DEP_2)
	v_pk_fma_f32 v[6:7], v[8:9], v[6:7], v[98:99]
	v_mov_b32_e32 v7, v113
	v_pk_fma_f32 v[0:1], v[8:9], v[0:1], v[12:13] op_sel_hi:[0,1,1]
	v_pk_fma_f32 v[2:3], v[8:9], v[2:3], v[102:103] op_sel_hi:[0,1,1]
	v_mov_b64_e32 v[12:13], 0xb8d79134b7aaf51e
	v_mov_b64_e32 v[98:99], 0x3b2a580c3a2584e2
	v_mov_b32_e32 v103, 0x285486e3
	v_pk_fma_f32 v[0:1], v[8:9], v[0:1], v[4:5] op_sel_hi:[0,1,1]
	v_mov_b64_e32 v[4:5], 0x2a096dcdaaa8ec10
	v_pk_fma_f32 v[2:3], v[8:9], v[2:3], v[100:101] op_sel_hi:[0,1,1]
	v_mov_b64_e32 v[112:113], s[2:3]
	s_delay_alu instid0(VALU_DEP_4) | instskip(SKIP_1) | instid1(VALU_DEP_4)
	v_pk_fma_f32 v[0:1], v[8:9], v[0:1], v[20:21] op_sel_hi:[0,1,1]
	v_mov_b64_e32 v[20:21], 0x2bb3732b2a63936d
	v_pk_fma_f32 v[2:3], v[8:9], v[2:3], v[12:13] op_sel_hi:[0,1,1]
	v_pk_fma_f32 v[4:5], v[8:9], v[6:7], v[4:5] op_sel_hi:[0,1,1]
	v_mov_b64_e32 v[6:7], 0xae6aefc22e297ba5
	v_pk_fma_f32 v[0:1], v[8:9], v[0:1], v[16:17] op_sel_hi:[0,1,1]
	v_mov_b64_e32 v[16:17], 0xbd3277c1bc55290c
	v_mov_b64_e32 v[12:13], 0xbb68ff12b9b7746e
	v_pk_fma_f32 v[4:5], v[8:9], v[4:5], v[20:21] op_sel_hi:[0,1,1]
	v_pk_fma_f32 v[20:21], v[8:9], v[2:3], v[98:99] op_sel_hi:[0,1,1]
	v_mov_b64_e32 v[98:99], 0x30295a722f20af46
	v_mov_b64_e32 v[2:3], 0x3d8413f93bdad080
	s_delay_alu instid0(VALU_DEP_4) | instskip(NEXT) | instid1(VALU_DEP_4)
	v_pk_fma_f32 v[100:101], v[8:9], v[4:5], v[6:7] op_sel_hi:[0,1,1]
	v_pk_fma_f32 v[4:5], v[8:9], v[20:21], v[16:17] op_sel_hi:[0,1,1]
	v_fmaak_f32 v21, s1, v8, 0xa5c6c9ae
	s_mov_b32 s1, 0x1efe73e4
	v_mov_b64_e32 v[16:17], 0xb22d5ecbb22e4af4
	v_fmaak_f32 v97, s1, v8, 0xa0fac7b0
	v_pk_fma_f32 v[0:1], v[8:9], v[0:1], v[12:13] op_sel_hi:[0,1,1]
	v_pk_fma_f32 v[12:13], v[8:9], v[100:101], v[98:99] op_sel_hi:[0,1,1]
	v_mov_b32_e32 v9, 0x27aaf4fd
	v_mov_b64_e32 v[100:101], 0x2a0bc999a4d12232
	v_mov_b32_e32 v20, 0x2688e20b
	v_fmaak_f32 v102, v8, v97, 0x22de7c76
	v_mov_b32_e32 v98, 0x27f0a4f0
	v_pk_fma_f32 v[12:13], v[8:9], v[12:13], v[16:17] op_sel_hi:[0,1,1]
	v_mov_b64_e32 v[16:17], 0xac88f6b326b3a764
	v_pk_fma_f32 v[20:21], v[8:9], v[20:21], v[8:9] op_sel_hi:[0,1,1]
	v_pk_fma_f32 v[100:101], v[8:9], v[102:103], v[100:101] op_sel_hi:[0,1,1]
	v_pk_fma_f32 v[98:99], v[8:9], v[112:113], v[98:99] neg_lo:[1,0,0] neg_hi:[1,0,0]
	v_mov_b64_e32 v[102:103], 0xa987de92273bcb3b
	v_mov_b64_e32 v[112:113], 0xad0870fda88d4c73
	v_mov_b32_e32 v99, v21
	v_pk_fma_f32 v[16:17], v[8:9], v[100:101], v[16:17] op_sel_hi:[0,1,1]
	v_mov_b64_e32 v[100:101], 0x2b93ab6f2c0b98f6
	v_mov_b64_e32 v[20:21], 0x349c1d5d33f340d2
	v_mov_b64_e32 v[6:7], 0x3f0fea6b3e574a47
	v_pk_fma_f32 v[98:99], v[8:9], v[98:99], v[102:103] op_sel_hi:[0,1,1]
	v_pk_fma_f32 v[16:17], v[8:9], v[16:17], v[112:113] op_sel_hi:[0,1,1]
	v_mov_b64_e32 v[112:113], 0xad964a34ae6d84c5
	v_mov_b64_e32 v[102:103], 0xb6cd742cb6405672
	v_pk_fma_f32 v[0:1], v[8:9], v[0:1], v[2:3] op_sel_hi:[0,1,1]
	v_pk_fma_f32 v[98:99], v[8:9], v[98:99], v[100:101] op_sel_hi:[0,1,1]
	;; [unrolled: 1-line block ×4, first 2 shown]
	v_mov_b64_e32 v[20:21], 0x2f6ca2e230367714
	v_mov_b64_e32 v[100:101], 0xb442e2f72dba26d8
	v_pk_fma_f32 v[98:99], v[8:9], v[98:99], v[112:113] op_sel_hi:[0,1,1]
	v_pk_fma_f32 v[16:17], v[8:9], v[16:17], v[116:117] op_sel_hi:[0,1,1]
	;; [unrolled: 1-line block ×3, first 2 shown]
	v_mov_b64_e32 v[102:103], 0xb12dafa6b2172cb1
	v_mov_b64_e32 v[112:113], 0x3634d570af53ba94
	v_pk_fma_f32 v[20:21], v[8:9], v[98:99], v[20:21] op_sel_hi:[0,1,1]
	v_pk_fma_f32 v[16:17], v[8:9], v[16:17], v[100:101] op_sel_hi:[0,1,1]
	v_mov_b64_e32 v[100:101], 0x330cc5c834405a23
	v_mov_b64_e32 v[114:115], 0x37d1bdff30deab0f
	;; [unrolled: 1-line block ×3, first 2 shown]
	v_pk_fma_f32 v[20:21], v[8:9], v[20:21], v[102:103] op_sel_hi:[0,1,1]
	v_pk_fma_f32 v[16:17], v[8:9], v[16:17], v[112:113] op_sel_hi:[0,1,1]
	v_mov_b64_e32 v[112:113], 0xb4d19679b646b15e
	v_mov_b64_e32 v[116:117], 0xbaaf3902b254615c
	;; [unrolled: 1-line block ×3, first 2 shown]
	v_pk_fma_f32 v[20:21], v[8:9], v[20:21], v[100:101] op_sel_hi:[0,1,1]
	v_pk_fma_f32 v[16:17], v[8:9], v[16:17], v[114:115] op_sel_hi:[0,1,1]
	;; [unrolled: 1-line block ×3, first 2 shown]
	v_mov_b64_e32 v[98:99], 0x36686ccb380dc781
	v_mov_b64_e32 v[100:101], 0x3cbbb25b33a5d242
	v_pk_fma_f32 v[20:21], v[8:9], v[20:21], v[112:113] op_sel_hi:[0,1,1]
	v_pk_fma_f32 v[16:17], v[8:9], v[16:17], v[116:117] op_sel_hi:[0,1,1]
	v_pk_fma_f32 v[12:13], v[8:9], v[12:13], v[102:103] op_sel_hi:[0,1,1]
	v_mov_b64_e32 v[102:103], 0xb7cc0a9bb9bbeb3d
	v_mov_b64_e32 v[112:113], 0xbe7b8ca6b4c132a1
	v_pk_fma_f32 v[20:21], v[8:9], v[20:21], v[98:99] op_sel_hi:[0,1,1]
	v_pk_fma_f32 v[16:17], v[8:9], v[16:17], v[100:101] op_sel_hi:[0,1,1]
	v_mov_b64_e32 v[98:99], 0x3d6cc0bb3e14c917
	v_mov_b64_e32 v[100:101], 0x39ba0ac13c097f2d
	;; [unrolled: 1-line block ×3, first 2 shown]
	v_pk_fma_f32 v[20:21], v[8:9], v[20:21], v[102:103] op_sel_hi:[0,1,1]
	v_pk_fma_f32 v[16:17], v[8:9], v[16:17], v[112:113] op_sel_hi:[0,1,1]
	;; [unrolled: 1-line block ×4, first 2 shown]
	s_delay_alu instid0(VALU_DEP_4) | instskip(NEXT) | instid1(VALU_DEP_4)
	v_pk_fma_f32 v[6:7], v[8:9], v[20:21], v[100:101] op_sel_hi:[0,1,1]
	v_pk_fma_f32 v[16:17], v[8:9], v[16:17], v[114:115] op_sel_hi:[0,1,1]
.LBB0_24:
	s_or_b32 exec_lo, exec_lo, s0
                                        ; implicit-def: $vgpr8
.LBB0_25:
	s_and_not1_saveexec_b32 s0, s11
	s_cbranch_execz .LBB0_27
; %bb.26:
	v_mov_b64_e32 v[0:1], 0xa6038377a440066a
	v_mov_b64_e32 v[2:3], 0x27e128b1264fc70a
	;; [unrolled: 1-line block ×4, first 2 shown]
	v_add_f32_e32 v8, 0xc1480000, v8
	v_mov_b64_e32 v[12:13], 0x2a43ab74287b7ada
	v_mov_b64_e32 v[16:17], 0x2b7c39922b5dec6d
	;; [unrolled: 1-line block ×4, first 2 shown]
	v_pk_fma_f32 v[0:1], v[8:9], v[0:1], v[2:3] op_sel_hi:[0,1,1]
	v_pk_fma_f32 v[4:5], v[8:9], v[4:5], v[6:7] op_sel_hi:[0,1,1]
	v_mov_b64_e32 v[2:3], 0x29c9db212924da84
	v_mov_b64_e32 v[6:7], 0xae1ba48cac922fa1
	v_mov_b64_e32 v[100:101], 0xb2ac79fcb0b745ac
	v_pk_fma_f32 v[0:1], v[8:9], v[0:1], v[12:13] op_sel_hi:[0,1,1]
	v_pk_fma_f32 v[4:5], v[8:9], v[4:5], v[16:17] op_sel_hi:[0,1,1]
	v_mov_b64_e32 v[12:13], 0x2ed241912dca6e78
	v_mov_b64_e32 v[16:17], 0xb227e55fb08e0442
	v_mov_b64_e32 v[102:103], 0x3425c2acb2be71c6
	;; [unrolled: 5-line block ×3, first 2 shown]
	v_pk_fma_f32 v[0:1], v[8:9], v[0:1], v[6:7] op_sel_hi:[0,1,1]
	v_pk_fma_f32 v[4:5], v[8:9], v[4:5], v[98:99] op_sel_hi:[0,1,1]
	v_mov_b64_e32 v[6:7], 0x3987428637c824cc
	s_mov_b32 s1, 0xa6980722
	v_mov_b64_e32 v[98:99], 0xbbb5c6a0ba0c4bab
	v_pk_fma_f32 v[12:13], v[8:9], v[0:1], v[12:13] op_sel_hi:[0,1,1]
	v_pk_fma_f32 v[4:5], v[8:9], v[4:5], v[100:101] op_sel_hi:[0,1,1]
	v_mov_b64_e32 v[100:101], 0x3697b0f035dc8f0b
	v_mov_b64_e32 v[114:115], 0x2cc4968c29b4d951
	;; [unrolled: 1-line block ×3, first 2 shown]
	v_pk_fma_f32 v[12:13], v[8:9], v[12:13], v[16:17] op_sel_hi:[0,1,1]
	v_pk_fma_f32 v[4:5], v[8:9], v[4:5], v[102:103] op_sel_hi:[0,1,1]
	v_mov_b64_e32 v[16:17], 0x3b9b144d3a8e688d
	v_mov_b64_e32 v[102:103], 0xbda2098ebcae8062
	;; [unrolled: 1-line block ×3, first 2 shown]
	v_pk_fma_f32 v[2:3], v[8:9], v[12:13], v[2:3] op_sel_hi:[0,1,1]
	v_pk_fma_f32 v[4:5], v[8:9], v[4:5], v[100:101] op_sel_hi:[0,1,1]
	v_mov_b64_e32 v[12:13], 0xab1ad20e29a3683c
	v_mov_b32_e32 v100, 0x2821c54e
	v_fmaak_f32 v101, s1, v8, 0x28b14fc3
	v_pk_fma_f32 v[2:3], v[8:9], v[2:3], v[20:21] op_sel_hi:[0,1,1]
	v_pk_fma_f32 v[4:5], v[8:9], v[4:5], v[112:113] op_sel_hi:[0,1,1]
	v_mov_b64_e32 v[20:21], 0x2d30995e2983c391
	s_mov_b32 s1, 0xa018590b
	v_pk_fma_f32 v[12:13], v[8:9], v[100:101], v[12:13] op_sel_hi:[0,1,1]
	v_pk_fma_f32 v[2:3], v[8:9], v[2:3], v[6:7] op_sel_hi:[0,1,1]
	;; [unrolled: 1-line block ×3, first 2 shown]
	v_fmaak_f32 v9, s1, v8, 0x221f8da1
	v_mov_b64_e32 v[112:113], 0xaf3d39c4ae3a38e8
	v_mov_b32_e32 v101, 0x28ca1751
	s_mov_b32 s1, 0x22395373
	v_mov_b64_e32 v[16:17], 0x3172ce112fd70992
	v_pk_fma_f32 v[6:7], v[8:9], v[12:13], v[20:21] op_sel_hi:[0,1,1]
	v_pk_fma_f32 v[2:3], v[8:9], v[2:3], v[98:99] op_sel_hi:[0,1,1]
	;; [unrolled: 1-line block ×3, first 2 shown]
	v_fmaak_f32 v9, v8, v9, 0xa40f5070
	v_mov_b32_e32 v102, 0xa7e307af
	v_mov_b64_e32 v[98:99], 0xa8371f1ba7e0e884
	v_mov_b64_e32 v[12:13], 0x3f5c2cc23e969aeb
	s_delay_alu instid0(VALU_DEP_4) | instskip(SKIP_2) | instid1(VALU_DEP_1)
	v_pk_fma_f32 v[6:7], v[8:9], v[6:7], v[112:113] op_sel_hi:[0,1,1]
	v_fmaak_f32 v100, v8, v9, 0x2603be95
	v_mov_b32_e32 v9, 0x295b6d37
	v_pk_fma_f32 v[112:113], v[8:9], v[100:101], v[8:9] op_sel_hi:[0,1,1] neg_lo:[1,0,0] neg_hi:[1,0,0]
	v_pk_fma_f32 v[100:101], v[8:9], v[100:101], v[102:103]
	v_mov_b64_e32 v[102:103], 0xac564a67ab84f182
	s_delay_alu instid0(VALU_DEP_3)
	v_dual_mov_b32 v101, v113 :: v_dual_fmaak_f32 v20, s1, v8, 0xa44718f2
	v_pk_fma_f32 v[6:7], v[8:9], v[6:7], v[16:17] op_sel_hi:[0,1,1]
	v_mov_b64_e32 v[16:17], 0xb38934d8b225cd51
	v_mov_b64_e32 v[112:113], 0x2debb2ef2df3852b
	v_pk_fma_f32 v[0:1], v[8:9], v[2:3], v[0:1] op_sel_hi:[0,1,1]
	v_fmaak_f32 v21, v8, v20, 0x263d02b4
	v_mov_b32_e32 v20, 0x25cf89a3
	v_pk_fma_f32 v[2:3], v[8:9], v[4:5], v[12:13] op_sel_hi:[0,1,1]
	v_pk_fma_f32 v[6:7], v[8:9], v[6:7], v[16:17] op_sel_hi:[0,1,1]
	v_mov_b64_e32 v[16:17], 0xac1168b6abf62839
	s_delay_alu instid0(VALU_DEP_4) | instskip(SKIP_1) | instid1(VALU_DEP_1)
	v_pk_fma_f32 v[20:21], v[8:9], v[20:21], v[98:99] op_sel_hi:[0,1,1]
	v_mov_b64_e32 v[98:99], 0x2a27e7db29dff2d1
	v_pk_fma_f32 v[20:21], v[8:9], v[20:21], v[98:99] op_sel_hi:[0,1,1]
	v_pk_fma_f32 v[98:99], v[8:9], v[100:101], v[114:115] op_sel_hi:[0,1,1]
	v_mov_b64_e32 v[114:115], 0xb0a8391b2d3321b7
	v_mov_b64_e32 v[100:101], 0x358c6c6b34b7b742
	s_delay_alu instid0(VALU_DEP_4) | instskip(NEXT) | instid1(VALU_DEP_4)
	v_pk_fma_f32 v[16:17], v[8:9], v[20:21], v[16:17] op_sel_hi:[0,1,1]
	v_pk_fma_f32 v[20:21], v[8:9], v[98:99], v[102:103] op_sel_hi:[0,1,1]
	v_mov_b64_e32 v[102:103], 0xafb1bf9eafe0adcd
	v_mov_b64_e32 v[98:99], 0xb7913f4bb6fc44f3
	s_delay_alu instid0(VALU_DEP_4) | instskip(NEXT) | instid1(VALU_DEP_4)
	v_pk_fma_f32 v[16:17], v[8:9], v[16:17], v[112:113] op_sel_hi:[0,1,1]
	v_pk_fma_f32 v[20:21], v[8:9], v[20:21], v[114:115] op_sel_hi:[0,1,1]
	;; [unrolled: 1-line block ×3, first 2 shown]
	v_mov_b64_e32 v[100:101], 0x3179f2d231cf9908
	v_mov_b64_e32 v[112:113], 0x348ad646307133cd
	v_pk_fma_f32 v[16:17], v[8:9], v[16:17], v[102:103] op_sel_hi:[0,1,1]
	v_pk_fma_f32 v[20:21], v[8:9], v[20:21], v[116:117] op_sel_hi:[0,1,1]
	;; [unrolled: 1-line block ×3, first 2 shown]
	v_mov_b64_e32 v[98:99], 0xb3214502b3b0da99
	v_mov_b64_e32 v[102:103], 0x35b42cd3b1eb3ef8
	v_pk_fma_f32 v[16:17], v[8:9], v[16:17], v[100:101] op_sel_hi:[0,1,1]
	v_pk_fma_f32 v[20:21], v[8:9], v[20:21], v[112:113] op_sel_hi:[0,1,1]
	v_mov_b64_e32 v[112:113], 0x34bb74c535883c6f
	v_mov_b64_e32 v[114:115], 0xb870484333477c03
	;; [unrolled: 1-line block ×3, first 2 shown]
	v_pk_fma_f32 v[16:17], v[8:9], v[16:17], v[98:99] op_sel_hi:[0,1,1]
	v_pk_fma_f32 v[20:21], v[8:9], v[20:21], v[102:103] op_sel_hi:[0,1,1]
	v_mov_b64_e32 v[102:103], 0xb6446660b74a2663
	v_mov_b64_e32 v[116:117], 0xba7aae89b48f4dd4
	v_mov_b64_e32 v[98:99], 0xbb62e0c1bbb0777e
	v_pk_fma_f32 v[16:17], v[8:9], v[16:17], v[112:113] op_sel_hi:[0,1,1]
	v_pk_fma_f32 v[20:21], v[8:9], v[20:21], v[114:115] op_sel_hi:[0,1,1]
	;; [unrolled: 1-line block ×3, first 2 shown]
	v_mov_b64_e32 v[100:101], 0x37b29fed39051818
	v_mov_b64_e32 v[112:113], 0x3d2d694035a7438b
	v_pk_fma_f32 v[16:17], v[8:9], v[16:17], v[102:103] op_sel_hi:[0,1,1]
	v_pk_fma_f32 v[20:21], v[8:9], v[20:21], v[116:117] op_sel_hi:[0,1,1]
	;; [unrolled: 1-line block ×3, first 2 shown]
	v_mov_b64_e32 v[98:99], 0xb8fa78b6ba8a552b
	v_mov_b64_e32 v[102:103], 0xbf13a93ab690935c
	v_pk_fma_f32 v[16:17], v[8:9], v[16:17], v[100:101] op_sel_hi:[0,1,1]
	v_pk_fma_f32 v[20:21], v[8:9], v[20:21], v[112:113] op_sel_hi:[0,1,1]
	v_mov_b64_e32 v[100:101], 0x3d90094e3e2c2854
	v_mov_b64_e32 v[112:113], 0x3a2938683c3d4e8a
	;; [unrolled: 1-line block ×3, first 2 shown]
	v_pk_fma_f32 v[16:17], v[8:9], v[16:17], v[98:99] op_sel_hi:[0,1,1]
	v_pk_fma_f32 v[20:21], v[8:9], v[20:21], v[102:103] op_sel_hi:[0,1,1]
	;; [unrolled: 1-line block ×3, first 2 shown]
	s_delay_alu instid0(VALU_DEP_3) | instskip(NEXT) | instid1(VALU_DEP_3)
	v_pk_fma_f32 v[6:7], v[8:9], v[16:17], v[112:113] op_sel_hi:[0,1,1]
	v_pk_fma_f32 v[16:17], v[8:9], v[20:21], v[114:115] op_sel_hi:[0,1,1]
.LBB0_27:
	s_or_b32 exec_lo, exec_lo, s0
                                        ; implicit-def: $vgpr8
.LBB0_28:
	s_and_not1_saveexec_b32 s0, s10
	s_cbranch_execz .LBB0_30
; %bb.29:
	v_add_f32_e32 v8, 0xc0f00000, v8
	s_mov_b32 s1, 0xa7844894
	s_mov_b32 s2, 0x284d0c9c
	v_mov_b32_e32 v0, 0x284d0c9c
	v_mov_b32_e32 v3, 0xabb6767e
	v_fmaak_f32 v1, s1, v8, 0x28665c86
	v_mov_b32_e32 v2, 0x2a55a02a
	v_mov_b64_e32 v[6:7], s[2:3]
	s_mov_b32 s1, 0xa8664056
	v_mov_b64_e32 v[12:13], 0x2c8410e9ab44044a
	v_mov_b32_e32 v16, 0x287a6e72
	v_pk_fma_f32 v[0:1], v[8:9], v[0:1], v[2:3] op_sel_hi:[0,1,1]
	v_mov_b64_e32 v[4:5], 0x2d81ef09aca96f2d
	v_mov_b64_e32 v[20:21], 0x355c3da233c4add8
	v_pk_fma_f32 v[2:3], v[8:9], v[6:7], v[2:3] neg_lo:[1,0,0] neg_hi:[1,0,0]
	v_mov_b64_e32 v[6:7], 0x301632332f2c41b4
	v_mov_b32_e32 v3, v1
	v_fmaak_f32 v17, s1, v8, 0x28b41034
	v_mov_b64_e32 v[0:1], 0xadee33262ba5a3f3
	s_mov_b32 s1, 0x26b51f40
	v_mov_b64_e32 v[98:99], 0x3a00872a383f7d66
	v_pk_fma_f32 v[2:3], v[8:9], v[2:3], v[4:5] op_sel_hi:[0,1,1]
	v_pk_fma_f32 v[12:13], v[8:9], v[16:17], v[12:13] op_sel_hi:[0,1,1]
	v_mov_b64_e32 v[4:5], 0xb0a3a1a02f3dbc17
	v_mov_b64_e32 v[16:17], 0xb2d056bfb1806e3b
	;; [unrolled: 1-line block ×3, first 2 shown]
	v_pk_fma_f32 v[2:3], v[8:9], v[2:3], v[6:7] op_sel_hi:[0,1,1]
	v_pk_fma_f32 v[0:1], v[8:9], v[12:13], v[0:1] op_sel_hi:[0,1,1]
	v_mov_b64_e32 v[6:7], 0x323e2106b17d538d
	v_mov_b64_e32 v[12:13], 0xb7b8de18b60f7647
	s_mov_b32 s2, 0xa348a2a3
	v_pk_fma_f32 v[2:3], v[8:9], v[2:3], v[16:17] op_sel_hi:[0,1,1]
	v_pk_fma_f32 v[0:1], v[8:9], v[0:1], v[4:5] op_sel_hi:[0,1,1]
	v_mov_b64_e32 v[4:5], 0x34d4547f32f6f4e4
	v_mov_b64_e32 v[16:17], 0xb69397a735e5ecbe
	;; [unrolled: 1-line block ×3, first 2 shown]
	v_pk_fma_f32 v[2:3], v[8:9], v[2:3], v[20:21] op_sel_hi:[0,1,1]
	v_pk_fma_f32 v[0:1], v[8:9], v[0:1], v[6:7] op_sel_hi:[0,1,1]
	v_fmaak_f32 v7, s1, v8, 0xa8d3021f
	v_mov_b32_e32 v6, 0x280f4f2a
	s_mov_b32 s1, 0x21572974
	v_pk_fma_f32 v[2:3], v[8:9], v[2:3], v[12:13] op_sel_hi:[0,1,1]
	v_pk_fma_f32 v[0:1], v[8:9], v[0:1], v[4:5] op_sel_hi:[0,1,1]
	v_mov_b64_e32 v[4:5], 0xacf05408aa8bf20a
	v_fmaak_f32 v7, v8, v7, 0x2adfac9a
	v_mov_b64_e32 v[12:13], 0xbc15cc46ba638ac2
	v_pk_fma_f32 v[2:3], v[8:9], v[2:3], v[98:99] op_sel_hi:[0,1,1]
	v_pk_fma_f32 v[0:1], v[8:9], v[0:1], v[16:17] op_sel_hi:[0,1,1]
	v_mov_b64_e32 v[16:17], 0x2efadbb32ca7857e
	v_mov_b64_e32 v[98:99], 0xb0fae3bbaed1b194
	v_pk_fma_f32 v[4:5], v[8:9], v[6:7], v[4:5] op_sel_hi:[0,1,1]
	v_mov_b64_e32 v[6:7], 0x3c0148ef3b03afd0
	v_pk_fma_f32 v[20:21], v[8:9], v[0:1], v[100:101] op_sel_hi:[0,1,1]
	v_pk_fma_f32 v[0:1], v[8:9], v[2:3], v[12:13] op_sel_hi:[0,1,1]
	v_mov_b64_e32 v[12:13], 0x32ee1f0b3118eb6d
	v_pk_fma_f32 v[4:5], v[8:9], v[4:5], v[16:17] op_sel_hi:[0,1,1]
	v_mov_b64_e32 v[100:101], 0xab258bcdaa63c10f
	v_mov_b64_e32 v[114:115], 0x302732ff30503c11
	v_pk_fma_f32 v[2:3], v[8:9], v[20:21], v[6:7] op_sel_hi:[0,1,1]
	v_mov_b64_e32 v[6:7], 0xbe117753bd14d1dc
	v_pk_fma_f32 v[4:5], v[8:9], v[4:5], v[98:99] op_sel_hi:[0,1,1]
	v_fmaak_f32 v9, s1, v8, 0xa3696281
	v_fmaak_f32 v20, s2, v8, 0x2555a2e1
	s_mov_b32 s2, 0x266c9de8
	v_mov_b64_e32 v[98:99], 0xb4d7aceeb3412fae
	v_mov_b64_e32 v[116:117], 0x31b8e52fb1ee1910
	v_pk_fma_f32 v[4:5], v[8:9], v[4:5], v[12:13] op_sel_hi:[0,1,1]
	v_fmaak_f32 v12, v8, v9, 0x25597533
	v_pk_fma_f32 v[2:3], v[8:9], v[2:3], v[6:7] op_sel_hi:[0,1,1]
	v_fmaak_f32 v7, v8, v20, 0xa744bb38
	v_mov_b32_e32 v6, 0x266c9de8
	v_mov_b32_e32 v9, 0x2939e153
	v_fmaak_f32 v13, v8, v12, 0xa74f4a45
	v_mov_b64_e32 v[20:21], s[2:3]
	v_mov_b32_e32 v12, 0x2877704b
	v_mov_b64_e32 v[16:17], 0x3dfb10ad3c4909af
	v_pk_fma_f32 v[6:7], v[8:9], v[6:7], v[8:9] op_sel_hi:[0,1,1]
	v_fmaak_f32 v9, v8, v13, 0x29394dfa
	s_delay_alu instid0(VALU_DEP_1) | instskip(NEXT) | instid1(VALU_DEP_3)
	v_pk_fma_f32 v[12:13], v[8:9], v[20:21], v[12:13] neg_lo:[1,0,0] neg_hi:[1,0,0]
	v_dual_mov_b32 v13, v7 :: v_dual_fmaak_f32 v20, v8, v9, 0xab193ecb
	v_mov_b32_e32 v9, 0xac24b72c
	v_mov_b32_e32 v21, 0x2a067ae9
	v_mov_b64_e32 v[6:7], 0x2d094fb32c573107
	s_delay_alu instid0(VALU_DEP_3)
	v_pk_fma_f32 v[12:13], v[8:9], v[12:13], v[100:101] op_sel_hi:[0,1,1]
	v_pk_fma_f32 v[4:5], v[8:9], v[4:5], v[98:99] op_sel_hi:[0,1,1]
	v_mov_b32_e32 v98, 0x2ce9f7c1
	v_pk_fma_f32 v[102:103], v[8:9], v[20:21], v[8:9] op_sel_hi:[0,1,1] neg_lo:[1,0,0] neg_hi:[1,0,0]
	v_mov_b64_e32 v[100:101], 0x3fb327743ede68d9
	v_pk_fma_f32 v[6:7], v[8:9], v[12:13], v[6:7] op_sel_hi:[0,1,1]
	v_mov_b64_e32 v[12:13], 0xaed3d353ae40fb43
	v_pk_fma_f32 v[20:21], v[8:9], v[20:21], v[98:99]
	v_mov_b32_e32 v21, v103
	v_mov_b64_e32 v[102:103], 0x30970d483022d611
	v_mov_b64_e32 v[98:99], 0x36b7f45d35765f9f
	v_pk_fma_f32 v[0:1], v[8:9], v[0:1], v[16:17] op_sel_hi:[0,1,1]
	v_pk_fma_f32 v[2:3], v[8:9], v[2:3], v[100:101] op_sel_hi:[0,1,1]
	;; [unrolled: 1-line block ×4, first 2 shown]
	v_mov_b64_e32 v[112:113], 0xb245a454b200e972
	v_mov_b64_e32 v[20:21], 0xb891e4d6b79cab50
	v_pk_fma_f32 v[4:5], v[8:9], v[4:5], v[98:99] op_sel_hi:[0,1,1]
	v_pk_fma_f32 v[6:7], v[8:9], v[6:7], v[102:103] op_sel_hi:[0,1,1]
	;; [unrolled: 1-line block ×3, first 2 shown]
	v_mov_b64_e32 v[98:99], 0x33eaf79e33be162f
	v_mov_b64_e32 v[102:103], 0xb38649dd3371790f
	;; [unrolled: 1-line block ×3, first 2 shown]
	v_pk_fma_f32 v[6:7], v[8:9], v[6:7], v[112:113] op_sel_hi:[0,1,1]
	v_pk_fma_f32 v[12:13], v[8:9], v[12:13], v[116:117] op_sel_hi:[0,1,1]
	;; [unrolled: 1-line block ×3, first 2 shown]
	v_mov_b64_e32 v[20:21], 0xb57aa27eb5819875
	v_mov_b64_e32 v[112:113], 0xb60f57a1b4d56800
	v_pk_fma_f32 v[6:7], v[8:9], v[6:7], v[98:99] op_sel_hi:[0,1,1]
	v_pk_fma_f32 v[12:13], v[8:9], v[12:13], v[102:103] op_sel_hi:[0,1,1]
	v_mov_b64_e32 v[102:103], 0x36ebaa6a372135ae
	v_mov_b64_e32 v[98:99], 0x3a5313a639c58e49
	v_mov_b64_e32 v[116:117], 0x3641c034b74602e7
	v_pk_fma_f32 v[6:7], v[8:9], v[6:7], v[20:21] op_sel_hi:[0,1,1]
	v_pk_fma_f32 v[12:13], v[8:9], v[12:13], v[112:113] op_sel_hi:[0,1,1]
	v_mov_b64_e32 v[112:113], 0xb83e5215b8b3a1c6
	v_mov_b64_e32 v[20:21], 0xbc059dbebc04c901
	s_delay_alu instid0(VALU_DEP_4) | instskip(NEXT) | instid1(VALU_DEP_4)
	v_pk_fma_f32 v[6:7], v[8:9], v[6:7], v[102:103] op_sel_hi:[0,1,1]
	v_pk_fma_f32 v[12:13], v[8:9], v[12:13], v[114:115] op_sel_hi:[0,1,1]
	;; [unrolled: 1-line block ×3, first 2 shown]
	v_mov_b64_e32 v[98:99], 0x397d76e43a2e9a57
	v_mov_b64_e32 v[102:103], 0x3d46bf21383db068
	v_pk_fma_f32 v[6:7], v[8:9], v[6:7], v[112:113] op_sel_hi:[0,1,1]
	v_pk_fma_f32 v[12:13], v[8:9], v[12:13], v[116:117] op_sel_hi:[0,1,1]
	;; [unrolled: 1-line block ×3, first 2 shown]
	v_mov_b64_e32 v[20:21], 0xba7fd5f4bb88e3ad
	v_mov_b64_e32 v[112:113], 0xbf859021b8fdfe77
	v_pk_fma_f32 v[6:7], v[8:9], v[6:7], v[98:99] op_sel_hi:[0,1,1]
	v_pk_fma_f32 v[12:13], v[8:9], v[12:13], v[102:103] op_sel_hi:[0,1,1]
	v_mov_b64_e32 v[98:99], 0x3dc704bb3e4dec9e
	v_mov_b64_e32 v[102:103], 0x3b28c4c73cb8aeff
	v_mov_b64_e32 v[114:115], 0x40fcc4bc393783ba
	v_pk_fma_f32 v[6:7], v[8:9], v[6:7], v[20:21] op_sel_hi:[0,1,1]
	v_pk_fma_f32 v[12:13], v[8:9], v[12:13], v[112:113] op_sel_hi:[0,1,1]
	;; [unrolled: 1-line block ×3, first 2 shown]
	s_delay_alu instid0(VALU_DEP_3) | instskip(NEXT) | instid1(VALU_DEP_3)
	v_pk_fma_f32 v[6:7], v[8:9], v[6:7], v[102:103] op_sel_hi:[0,1,1]
	v_pk_fma_f32 v[16:17], v[8:9], v[12:13], v[114:115] op_sel_hi:[0,1,1]
.LBB0_30:
	s_or_b32 exec_lo, exec_lo, s0
                                        ; implicit-def: $vgpr8
.LBB0_31:
	s_and_not1_saveexec_b32 s0, s9
	s_cbranch_execz .LBB0_33
; %bb.32:
	v_add_f32_e32 v8, 0xc0400000, v8
	s_mov_b32 s1, 0x283c4bc8
	v_mov_b32_e32 v0, 0x28e8888b
	v_mov_b32_e32 v3, 0xaca9fa51
	;; [unrolled: 1-line block ×3, first 2 shown]
	v_fmaak_f32 v1, s1, v8, 0x29754577
	s_mov_b32 s2, 0x28e8888b
	v_mov_b64_e32 v[4:5], 0x2ef9f35dadb9f664
	v_mov_b64_e32 v[6:7], s[2:3]
	s_mov_b32 s1, 0xa99b4e1a
	v_pk_fma_f32 v[0:1], v[8:9], v[0:1], v[2:3] op_sel_hi:[0,1,1]
	v_mov_b32_e32 v3, 0xadee3388
	v_mov_b32_e32 v13, 0x2c7e3ce8
	v_mov_b64_e32 v[16:17], 0xb2ca294cb2474a47
	v_mov_b64_e32 v[98:99], 0x3072ed00afba689a
	;; [unrolled: 1-line block ×3, first 2 shown]
	v_pk_fma_f32 v[6:7], v[8:9], v[6:7], v[2:3] neg_lo:[1,0,0] neg_hi:[1,0,0]
	v_dual_mov_b32 v7, v1 :: v_dual_fmaak_f32 v12, s1, v8, 0x2b26a6ba
	v_mov_b32_e32 v2, 0x2da27a98
	v_mov_b64_e32 v[0:1], 0xb097c8ac300c2389
	s_mov_b32 s1, 0x2911b091
	s_delay_alu instid0(VALU_DEP_3)
	v_pk_fma_f32 v[4:5], v[8:9], v[6:7], v[4:5] op_sel_hi:[0,1,1]
	v_mov_b64_e32 v[6:7], 0x35c0f7e634848167
	v_pk_fma_f32 v[20:21], v[8:9], v[12:13], v[2:3] op_sel_hi:[0,1,1] neg_lo:[1,0,0] neg_hi:[1,0,0]
	v_pk_fma_f32 v[2:3], v[8:9], v[12:13], v[2:3]
	v_mov_b64_e32 v[12:13], 0x3288b91db14dd9f5
	v_pk_fma_f32 v[0:1], v[8:9], v[4:5], v[0:1] op_sel_hi:[0,1,1]
	v_mov_b64_e32 v[4:5], 0xb83196c5b6a5464f
	v_mov_b32_e32 v3, v21
	v_mov_b64_e32 v[20:21], 0x3a6f159b38bd48ef
	s_mov_b32 s2, 0x291a6110
	v_pk_fma_f32 v[0:1], v[8:9], v[0:1], v[16:17] op_sel_hi:[0,1,1]
	v_mov_b64_e32 v[16:17], 0xbc79d283babe4db0
	v_pk_fma_f32 v[2:3], v[8:9], v[2:3], v[98:99] op_sel_hi:[0,1,1]
	v_mov_b64_e32 v[98:99], 0xb40e5bdd34291137
	v_mov_b64_e32 v[102:103], 0xae0146bcacfcc6b3
	v_pk_fma_f32 v[0:1], v[8:9], v[0:1], v[6:7] op_sel_hi:[0,1,1]
	v_mov_b64_e32 v[6:7], 0xb89b672bb8c919df
	v_pk_fma_f32 v[2:3], v[8:9], v[2:3], v[12:13] op_sel_hi:[0,1,1]
	v_fmaak_f32 v9, s1, v8, 0xab1394d7
	v_mov_b32_e32 v12, 0x29eaf8e8
	s_mov_b32 s1, 0x283b7ae5
	v_mov_b64_e32 v[112:113], 0x333fcbb5327d03f8
	v_mov_b64_e32 v[114:115], 0xaec10040333a1722
	v_pk_fma_f32 v[0:1], v[8:9], v[0:1], v[4:5] op_sel_hi:[0,1,1]
	v_mov_b64_e32 v[4:5], 0xaefc0358ac089e7f
	v_fmaak_f32 v13, v8, v9, 0x2d08385c
	v_pk_fma_f32 v[2:3], v[8:9], v[2:3], v[98:99] op_sel_hi:[0,1,1]
	v_mov_b64_e32 v[98:99], 0x3c20cc453b540aef
	v_pk_fma_f32 v[0:1], v[8:9], v[0:1], v[20:21] op_sel_hi:[0,1,1]
	v_mov_b64_e32 v[20:21], 0x30ddff272e194b61
	v_mov_b64_e32 v[116:117], 0xb120ff49b4cd7237
	v_pk_fma_f32 v[4:5], v[8:9], v[12:13], v[4:5] op_sel_hi:[0,1,1]
	v_pk_fma_f32 v[2:3], v[8:9], v[2:3], v[100:101] op_sel_hi:[0,1,1]
	v_mov_b64_e32 v[12:13], 0xb2b91856b02c8df6
	v_pk_fma_f32 v[0:1], v[8:9], v[0:1], v[16:17] op_sel_hi:[0,1,1]
	v_mov_b64_e32 v[16:17], 0xbe6468aebd74c58a
	v_pk_fma_f32 v[4:5], v[8:9], v[4:5], v[20:21] op_sel_hi:[0,1,1]
	v_pk_fma_f32 v[6:7], v[8:9], v[2:3], v[6:7] op_sel_hi:[0,1,1]
	v_mov_b32_e32 v20, 0x2b143093
	v_mov_b64_e32 v[100:101], 0x349174d0323d1bdc
	v_mov_b64_e32 v[2:3], 0x3e3447d53c8e1023
	v_pk_fma_f32 v[4:5], v[8:9], v[4:5], v[12:13] op_sel_hi:[0,1,1]
	v_fmaak_f32 v13, s1, v8, 0xaa350dc3
	s_mov_b32 s1, 0xa66b6b05
	v_pk_fma_f32 v[6:7], v[8:9], v[6:7], v[98:99] op_sel_hi:[0,1,1]
	v_mov_b32_e32 v12, 0x291a6110
	v_mov_b32_e32 v9, 0x2c19a711
	v_fmaak_f32 v21, s1, v8, 0x286caab9
	v_mov_b64_e32 v[98:99], s[2:3]
	s_delay_alu instid0(VALU_DEP_3) | instskip(NEXT) | instid1(VALU_DEP_3)
	v_pk_fma_f32 v[12:13], v[8:9], v[12:13], v[8:9] op_sel_hi:[0,1,1]
	v_fmaak_f32 v9, v8, v21, 0xaa5112f7
	s_delay_alu instid0(VALU_DEP_1) | instskip(NEXT) | instid1(VALU_DEP_3)
	v_pk_fma_f32 v[20:21], v[8:9], v[98:99], v[20:21] neg_lo:[1,0,0] neg_hi:[1,0,0]
	v_mov_b32_e32 v21, v13
	v_fmaak_f32 v9, v8, v9, 0x2c36bc73
	v_mov_b64_e32 v[12:13], 0xb655e8e2b44a37b4
	v_mov_b64_e32 v[98:99], 0x2fca44e62ed6b60e
	s_delay_alu instid0(VALU_DEP_3)
	v_pk_fma_f32 v[4:5], v[8:9], v[4:5], v[100:101] op_sel_hi:[0,1,1]
	v_pk_fma_f32 v[20:21], v[8:9], v[20:21], v[102:103] op_sel_hi:[0,1,1]
	;; [unrolled: 1-line block ×3, first 2 shown]
	v_fmaak_f32 v9, v8, v9, 0xae14548c
	v_mov_b32_e32 v101, 0x2b4880f0
	v_mov_b64_e32 v[102:103], 0x3811b88036519b48
	v_mov_b64_e32 v[16:17], 0x400dbc233f257ca0
	s_delay_alu instid0(VALU_DEP_4)
	v_pk_fma_f32 v[4:5], v[8:9], v[4:5], v[12:13] op_sel_hi:[0,1,1]
	v_pk_fma_f32 v[12:13], v[8:9], v[20:21], v[98:99] op_sel_hi:[0,1,1]
	v_mov_b64_e32 v[20:21], 0xb1919bb4b0aaf9df
	v_mov_b64_e32 v[98:99], 0x2c5ec5b6b196d20a
	v_fmaak_f32 v100, v8, v9, 0x2fdd4c13
	v_pk_fma_f32 v[4:5], v[8:9], v[4:5], v[102:103] op_sel_hi:[0,1,1]
	v_mov_b64_e32 v[102:103], 0x3674c2a635d8f61a
	v_pk_fma_f32 v[0:1], v[8:9], v[0:1], v[2:3] op_sel_hi:[0,1,1]
	v_pk_fma_f32 v[2:3], v[8:9], v[6:7], v[16:17] op_sel_hi:[0,1,1]
	;; [unrolled: 1-line block ×4, first 2 shown]
	v_mov_b64_e32 v[100:101], 0xb4e4f82eb42d0f72
	v_mov_b64_e32 v[98:99], 0xb9b52c0bb8538ffc
	s_delay_alu instid0(VALU_DEP_4) | instskip(NEXT) | instid1(VALU_DEP_4)
	v_pk_fma_f32 v[12:13], v[8:9], v[12:13], v[112:113] op_sel_hi:[0,1,1]
	v_pk_fma_f32 v[20:21], v[8:9], v[20:21], v[114:115] op_sel_hi:[0,1,1]
	v_mov_b64_e32 v[112:113], 0xb31631813647fd32
	v_mov_b64_e32 v[114:115], 0x35ca034938eed0b6
	s_delay_alu instid0(VALU_DEP_4) | instskip(NEXT) | instid1(VALU_DEP_4)
	v_pk_fma_f32 v[12:13], v[8:9], v[12:13], v[100:101] op_sel_hi:[0,1,1]
	v_pk_fma_f32 v[20:21], v[8:9], v[20:21], v[116:117] op_sel_hi:[0,1,1]
	;; [unrolled: 1-line block ×3, first 2 shown]
	v_mov_b64_e32 v[98:99], 0xb7e69389b776609c
	v_mov_b64_e32 v[100:101], 0xb4a2c3c3b7a86013
	v_pk_fma_f32 v[12:13], v[8:9], v[12:13], v[102:103] op_sel_hi:[0,1,1]
	v_pk_fma_f32 v[20:21], v[8:9], v[20:21], v[112:113] op_sel_hi:[0,1,1]
	v_mov_b64_e32 v[112:113], 0x393b42d938f95a24
	v_mov_b64_e32 v[102:103], 0x3b4865553a51cdc7
	;; [unrolled: 1-line block ×3, first 2 shown]
	v_pk_fma_f32 v[12:13], v[8:9], v[12:13], v[98:99] op_sel_hi:[0,1,1]
	v_pk_fma_f32 v[20:21], v[8:9], v[20:21], v[100:101] op_sel_hi:[0,1,1]
	v_mov_b64_e32 v[100:101], 0xba7dde2bba5b8fdc
	v_mov_b64_e32 v[98:99], 0xbcbbb194bc567441
	s_delay_alu instid0(VALU_DEP_4) | instskip(NEXT) | instid1(VALU_DEP_4)
	v_pk_fma_f32 v[12:13], v[8:9], v[12:13], v[112:113] op_sel_hi:[0,1,1]
	v_pk_fma_f32 v[20:21], v[8:9], v[20:21], v[114:115] op_sel_hi:[0,1,1]
	;; [unrolled: 1-line block ×3, first 2 shown]
	v_mov_b64_e32 v[102:103], 0x3b8850ce3ba1cafa
	v_mov_b64_e32 v[112:113], 0x3d40cefa3af08ca0
	v_pk_fma_f32 v[12:13], v[8:9], v[12:13], v[100:101] op_sel_hi:[0,1,1]
	v_pk_fma_f32 v[20:21], v[8:9], v[20:21], v[116:117] op_sel_hi:[0,1,1]
	;; [unrolled: 1-line block ×3, first 2 shown]
	v_mov_b64_e32 v[98:99], 0xbc5230cfbcb8bdde
	v_mov_b64_e32 v[100:101], 0xbfbcc86bbb8f7421
	v_pk_fma_f32 v[12:13], v[8:9], v[12:13], v[102:103] op_sel_hi:[0,1,1]
	v_pk_fma_f32 v[20:21], v[8:9], v[20:21], v[112:113] op_sel_hi:[0,1,1]
	v_mov_b64_e32 v[102:103], 0x3e23ab953e7d5202
	v_mov_b64_e32 v[112:113], 0x3cb626f53d8e611f
	;; [unrolled: 1-line block ×3, first 2 shown]
	v_pk_fma_f32 v[12:13], v[8:9], v[12:13], v[98:99] op_sel_hi:[0,1,1]
	v_pk_fma_f32 v[20:21], v[8:9], v[20:21], v[100:101] op_sel_hi:[0,1,1]
	;; [unrolled: 1-line block ×3, first 2 shown]
	s_delay_alu instid0(VALU_DEP_3) | instskip(NEXT) | instid1(VALU_DEP_3)
	v_pk_fma_f32 v[6:7], v[8:9], v[12:13], v[112:113] op_sel_hi:[0,1,1]
	v_pk_fma_f32 v[16:17], v[8:9], v[20:21], v[114:115] op_sel_hi:[0,1,1]
.LBB0_33:
	s_or_b32 exec_lo, exec_lo, s0
                                        ; implicit-def: $vgpr8
.LBB0_34:
	s_and_not1_saveexec_b32 s0, s8
	s_cbranch_execz .LBB0_36
; %bb.35:
	v_mov_b64_e32 v[2:3], 0x2f5455b22e44739a
	v_mov_b32_e32 v1, 0xb19d1daf
	v_mov_b64_e32 v[6:7], 0x32d55286b2e1e4d2
	s_mov_b32 s1, 0x31a6a427
	v_mov_b64_e32 v[12:13], 0x35ca49e0350a45d4
	v_mov_b64_e32 v[16:17], 0xb87eb4fdb71bae72
	v_mov_b64_e32 v[20:21], 0x3ab43bac391f2aeb
	v_pk_fma_f32 v[98:99], v[8:9], v[2:3], v[0:1] op_sel_hi:[0,1,1]
	v_mov_b32_e32 v4, 0x30a78266
	s_mov_b32 s2, 0x310c10db
	v_mov_b64_e32 v[100:101], 0xbcb46f9cbb0d784d
	v_mov_b64_e32 v[102:103], 0x3c25d2e03b8427bf
	v_mov_b64_e32 v[114:115], 0x364c0fc53ad92e46
	v_pk_fma_f32 v[2:3], v[8:9], v[2:3], v[4:5] neg_lo:[1,0,0] neg_hi:[1,0,0]
	v_mov_b32_e32 v3, v99
	v_mov_b32_e32 v9, 0xb691c9c6
	;; [unrolled: 1-line block ×3, first 2 shown]
	v_fmaak_f32 v4, s1, v8, 0x340d3d23
	s_mov_b32 s1, 0x32143c76
	v_mov_b64_e32 v[116:117], 0x38dded41bbf2b401
	v_pk_fma_f32 v[2:3], v[8:9], v[2:3], v[6:7] op_sel_hi:[0,1,1]
	v_mov_b64_e32 v[6:7], 0xb54841fcb8a074df
	v_pk_fma_f32 v[112:113], v[8:9], v[4:5], v[8:9] op_sel_hi:[0,1,1] neg_lo:[1,0,0] neg_hi:[1,0,0]
	v_mov_b32_e32 v98, 0xb639ac78
	v_mov_b64_e32 v[0:1], 0x3e6cd27d3cb9ade5
	v_pk_fma_f32 v[2:3], v[8:9], v[2:3], v[12:13] op_sel_hi:[0,1,1]
	v_mov_b32_e32 v12, 0x310c10db
	v_fmaak_f32 v13, s1, v8, 0xb415394f
	v_pk_fma_f32 v[4:5], v[8:9], v[4:5], v[98:99]
	v_mov_b32_e32 v5, v113
	v_pk_fma_f32 v[2:3], v[8:9], v[2:3], v[16:17] op_sel_hi:[0,1,1]
	v_mov_b32_e32 v9, 0x35d72305
	v_mov_b32_e32 v16, 0x33271f1f
	s_mov_b32 s1, 0x318cbc57
	v_mov_b64_e32 v[98:99], 0x35181824341e535e
	s_delay_alu instid0(VALU_DEP_3)
	v_pk_fma_f32 v[4:5], v[8:9], v[4:5], v[6:7] op_sel_hi:[0,1,1]
	v_mov_b64_e32 v[6:7], s[2:3]
	v_pk_fma_f32 v[12:13], v[8:9], v[12:13], v[8:9] op_sel_hi:[0,1,1]
	v_pk_fma_f32 v[2:3], v[8:9], v[2:3], v[20:21] op_sel_hi:[0,1,1]
	v_mov_b64_e32 v[20:21], 0xbe90feb9bda7392a
	v_pk_fma_f32 v[4:5], v[8:9], v[4:5], v[102:103] op_sel_hi:[0,1,1]
	v_mov_b32_e32 v103, 0x32195195
	v_pk_fma_f32 v[6:7], v[8:9], v[6:7], v[16:17] neg_lo:[1,0,0] neg_hi:[1,0,0]
	v_mov_b32_e32 v7, v13
	v_mov_b64_e32 v[12:13], 0xb78a1b67b51d030a
	v_pk_fma_f32 v[2:3], v[8:9], v[2:3], v[100:101] op_sel_hi:[0,1,1]
	v_fmaak_f32 v9, s1, v8, 0xb38af695
	v_mov_b64_e32 v[16:17], 0xb32556fab221d38a
	v_mov_b64_e32 v[100:101], 0x39215157370b4dcf
	s_delay_alu instid0(VALU_DEP_3) | instskip(SKIP_4) | instid1(VALU_DEP_3)
	v_pk_fma_f32 v[4:5], v[8:9], v[4:5], v[20:21] op_sel_hi:[0,1,1]
	v_pk_fma_f32 v[6:7], v[8:9], v[6:7], v[12:13] op_sel_hi:[0,1,1]
	v_fmaak_f32 v9, v8, v9, 0x35350544
	v_mov_b64_e32 v[12:13], 0xb6b956a9b5d355cf
	v_mov_b64_e32 v[20:21], 0x403e4e523f5b7b07
	v_pk_fma_f32 v[16:17], v[8:9], v[16:17], v[98:99] op_sel_hi:[0,1,1]
	v_pk_fma_f32 v[6:7], v[8:9], v[6:7], v[100:101] op_sel_hi:[0,1,1]
	v_fmaak_f32 v9, v8, v9, 0xb6c6932e
	v_mov_b64_e32 v[98:99], 0x383e11ba37736f4a
	v_mov_b64_e32 v[100:101], 0xbaa8e281b8ed6fab
	s_delay_alu instid0(VALU_DEP_3) | instskip(SKIP_3) | instid1(VALU_DEP_2)
	v_pk_fma_f32 v[12:13], v[8:9], v[16:17], v[12:13] op_sel_hi:[0,1,1]
	v_fmaak_f32 v102, v8, v9, 0x383e15a6
	v_mov_b32_e32 v9, 0x32984a3e
	v_mov_b64_e32 v[16:17], 0xb9a91af6b8f943da
	v_pk_fma_f32 v[12:13], v[8:9], v[12:13], v[98:99] op_sel_hi:[0,1,1]
	v_pk_fma_f32 v[6:7], v[8:9], v[6:7], v[100:101] op_sel_hi:[0,1,1]
	v_mov_b32_e32 v100, 0xb99cd0e8
	v_pk_fma_f32 v[112:113], v[8:9], v[102:103], v[8:9] op_sel_hi:[0,1,1] neg_lo:[1,0,0] neg_hi:[1,0,0]
	v_mov_b64_e32 v[98:99], 0x3c19d2ef3ac3775a
	v_pk_fma_f32 v[12:13], v[8:9], v[12:13], v[16:17] op_sel_hi:[0,1,1]
	v_mov_b64_e32 v[16:17], 0x3b003dff3a5fcaae
	v_pk_fma_f32 v[100:101], v[8:9], v[102:103], v[100:101]
	v_mov_b32_e32 v101, v113
	v_mov_b64_e32 v[112:113], 0xbc201c1abbab562b
	v_mov_b64_e32 v[102:103], 0xbd661675bca14620
	v_pk_fma_f32 v[6:7], v[8:9], v[6:7], v[98:99] op_sel_hi:[0,1,1]
	v_mov_b64_e32 v[98:99], 0x3d1b6cd73cd5b129
	v_pk_fma_f32 v[12:13], v[8:9], v[12:13], v[16:17] op_sel_hi:[0,1,1]
	v_pk_fma_f32 v[16:17], v[8:9], v[100:101], v[114:115] op_sel_hi:[0,1,1]
	v_mov_b64_e32 v[100:101], 0x3d3c44883ccd876f
	v_mov_b64_e32 v[114:115], 0x4193524d3d888afc
	v_pk_fma_f32 v[6:7], v[8:9], v[6:7], v[102:103] op_sel_hi:[0,1,1]
	v_pk_fma_f32 v[12:13], v[8:9], v[12:13], v[112:113] op_sel_hi:[0,1,1]
	v_pk_fma_f32 v[16:17], v[8:9], v[16:17], v[116:117] op_sel_hi:[0,1,1]
	v_mov_b64_e32 v[102:103], 0xbdd2e6cbbdc6e45f
	v_mov_b64_e32 v[112:113], 0xbfe07d69bd6b057d
	v_pk_fma_f32 v[0:1], v[8:9], v[2:3], v[0:1] op_sel_hi:[0,1,1]
	;; [unrolled: 5-line block ×3, first 2 shown]
	v_pk_fma_f32 v[12:13], v[8:9], v[12:13], v[102:103] op_sel_hi:[0,1,1]
	v_pk_fma_f32 v[16:17], v[8:9], v[16:17], v[112:113] op_sel_hi:[0,1,1]
	;; [unrolled: 1-line block ×3, first 2 shown]
	s_delay_alu instid0(VALU_DEP_3) | instskip(NEXT) | instid1(VALU_DEP_3)
	v_pk_fma_f32 v[6:7], v[8:9], v[12:13], v[100:101] op_sel_hi:[0,1,1]
	v_pk_fma_f32 v[16:17], v[8:9], v[16:17], v[114:115] op_sel_hi:[0,1,1]
.LBB0_36:
	s_or_b32 exec_lo, exec_lo, s0
                                        ; implicit-def: $vgpr8
.LBB0_37:
	s_and_not1_saveexec_b32 s0, s7
	s_cbranch_execz .LBB0_39
; %bb.38:
	v_mov_b64_e32 v[0:1], 0xbcb46f9cbb0d784d
	v_mov_b64_e32 v[2:3], 0x3e6cd27d3cb9ade5
	;; [unrolled: 1-line block ×10, first 2 shown]
	v_pk_fma_f32 v[0:1], v[8:9], v[0:1], v[2:3] op_sel_hi:[0,1,1]
	v_pk_fma_f32 v[2:3], v[8:9], v[4:5], v[6:7] op_sel_hi:[0,1,1]
	;; [unrolled: 1-line block ×5, first 2 shown]
.LBB0_39:
	s_or_b32 exec_lo, exec_lo, s0
	s_clause 0x3
	scratch_store_b128 off, v[0:3], s32 offset:112
	scratch_store_b32 off, v17, s32 offset:128
	scratch_store_b128 off, v[4:7], s32 offset:144
	scratch_store_b32 off, v16, s32 offset:160
.LBB0_40:
	s_wait_xcnt 0x0
	s_or_b32 exec_lo, exec_lo, s6
                                        ; implicit-def: $vgpr8
.LBB0_41:
	s_and_not1_saveexec_b32 s3, s5
	s_cbranch_execz .LBB0_81
; %bb.42:
	s_mov_b32 s5, exec_lo
	v_cmpx_eq_u32_e32 3, v32
	s_cbranch_execz .LBB0_80
; %bb.43:
	s_mov_b32 s0, exec_lo
                                        ; implicit-def: $vgpr5
                                        ; implicit-def: $vgpr2_vgpr3
	v_cmpx_ge_f32_e32 0x34a10fb0, v8
	s_xor_b32 s0, exec_lo, s0
	s_cbranch_execz .LBB0_45
; %bb.44:
	v_mov_b64_e32 v[0:1], 0xbd37ded9bb863b96
	v_mov_b64_e32 v[2:3], 0x3ec35cc63d0e9f4f
	v_mov_b64_e32 v[4:5], 0xbfb26435be514b60
	v_mov_b64_e32 v[6:7], 0x413d8a783fde6016
	v_mov_b64_e32 v[12:13], 0xbdb7eb7dbd008cf6
	v_mov_b64_e32 v[16:17], 0x3ea09e283eb9b1b0
	v_mov_b64_e32 v[20:21], 0xbda9a2babe046afd
	v_mov_b64_e32 v[98:99], 0x3dcf50e83e63b7db
	v_pk_fma_f32 v[0:1], v[8:9], v[0:1], v[2:3] op_sel_hi:[0,1,1]
	v_pk_fma_f32 v[2:3], v[8:9], v[4:5], v[6:7] op_sel_hi:[0,1,1]
	;; [unrolled: 1-line block ×3, first 2 shown]
	s_delay_alu instid0(VALU_DEP_4)
	v_pk_fma_f32 v[6:7], v[8:9], v[20:21], v[98:99] op_sel_hi:[0,1,1]
                                        ; implicit-def: $vgpr8
.LBB0_45:
	s_and_not1_saveexec_b32 s6, s0
	s_cbranch_execz .LBB0_79
; %bb.46:
	s_mov_b32 s0, exec_lo
                                        ; implicit-def: $vgpr5
                                        ; implicit-def: $vgpr2_vgpr3
	v_cmpx_ge_f32_e32 1.0, v8
	s_xor_b32 s0, exec_lo, s0
	s_cbranch_execz .LBB0_48
; %bb.47:
	s_mov_b32 s1, 0xaf56bec5
	v_mov_b32_e32 v3, 0x32a2d38f
	v_mov_b32_e32 v1, 0x34a521e7
	v_fmaak_f32 v2, s1, v8, 0x31b29714
	v_mov_b32_e32 v4, 0xb3da8534
	v_mov_b64_e32 v[6:7], 0x35aa969a35e7587c
	v_mov_b64_e32 v[12:13], 0xb9149d52b7db1d08
	s_mov_b32 s1, 0x30f3a70b
	v_pk_fma_f32 v[16:17], v[8:9], v[2:3], v[0:1] op_sel_hi:[0,1,1] neg_lo:[1,0,0] neg_hi:[1,0,0]
	v_pk_fma_f32 v[2:3], v[8:9], v[2:3], v[4:5]
	v_mov_b32_e32 v9, 0xb485f05f
	v_mov_b32_e32 v5, 0x3371075f
	s_delay_alu instid0(VALU_DEP_4) | instskip(SKIP_3) | instid1(VALU_DEP_3)
	v_dual_fmaak_f32 v4, s1, v8, 0x3310894f :: v_dual_mov_b32 v3, v17
	s_mov_b32 s1, 0xb18d7751
	v_mov_b64_e32 v[20:21], 0x3b537bba39b9084c
	v_mov_b64_e32 v[98:99], 0xbd37ded9bb863b96
	v_pk_fma_f32 v[100:101], v[8:9], v[4:5], v[8:9] op_sel_hi:[0,1,1] neg_lo:[1,0,0] neg_hi:[1,0,0]
	v_pk_fma_f32 v[2:3], v[8:9], v[2:3], v[6:7] op_sel_hi:[0,1,1]
	v_mov_b32_e32 v6, 0xb48ab230
	v_fmaak_f32 v7, s1, v8, 0x338ca700
	v_mov_b64_e32 v[16:17], 0x3666185cb73eaa1c
	s_mov_b32 s1, 0x31abae9b
	v_pk_fma_f32 v[2:3], v[8:9], v[2:3], v[12:13] op_sel_hi:[0,1,1]
	s_mov_b32 s8, 0x3312c10a
	v_pk_fma_f32 v[4:5], v[8:9], v[4:5], v[6:7]
	v_mov_b32_e32 v5, v101
	v_mov_b64_e32 v[12:13], 0x39300e83b8a5ffff
	v_pk_fma_f32 v[2:3], v[8:9], v[2:3], v[20:21] op_sel_hi:[0,1,1]
	v_mov_b32_e32 v20, 0x35082932
	v_mov_b64_e32 v[100:101], 0xb6f90dabb6a8559c
	v_pk_fma_f32 v[4:5], v[8:9], v[4:5], v[16:17] op_sel_hi:[0,1,1]
	v_fmaak_f32 v17, s1, v8, 0xb3aaa2d3
	v_pk_fma_f32 v[2:3], v[8:9], v[2:3], v[98:99] op_sel_hi:[0,1,1]
	v_mov_b32_e32 v16, 0x3312c10a
	v_mov_b32_e32 v9, 0x3560631c
	v_mov_b64_e32 v[98:99], s[8:9]
	s_mov_b32 s2, 0x3244f74c
	v_fmaak_f32 v7, v8, v7, 0xb5414923
	v_mov_b32_e32 v6, 0x3244f74c
	v_pk_fma_f32 v[16:17], v[8:9], v[16:17], v[8:9] op_sel_hi:[0,1,1]
	v_mov_b32_e32 v9, 0x36e8cb38
	v_mov_b32_e32 v16, 0x3449e154
	v_mov_b64_e32 v[102:103], 0x3b0f24613afed882
	v_mov_b64_e32 v[112:113], 0xbc23ce46bc27e650
	;; [unrolled: 1-line block ×3, first 2 shown]
	v_pk_fma_f32 v[20:21], v[8:9], v[98:99], v[20:21] neg_lo:[1,0,0] neg_hi:[1,0,0]
	v_mov_b32_e32 v21, v17
	v_mov_b64_e32 v[98:99], s[2:3]
	v_pk_fma_f32 v[4:5], v[8:9], v[4:5], v[12:13] op_sel_hi:[0,1,1]
	v_mov_b64_e32 v[12:13], 0x3871bbc33830502e
	v_pk_fma_f32 v[6:7], v[8:9], v[6:7], v[8:9] op_sel_hi:[0,1,1]
	v_pk_fma_f32 v[20:21], v[8:9], v[20:21], v[100:101] op_sel_hi:[0,1,1]
	v_mov_b64_e32 v[100:101], 0xb9cab6b2b9a18075
	v_pk_fma_f32 v[0:1], v[8:9], v[2:3], v[0:1] op_sel_hi:[0,1,1]
	v_pk_fma_f32 v[16:17], v[8:9], v[98:99], v[16:17] neg_lo:[1,0,0] neg_hi:[1,0,0]
	v_mov_b64_e32 v[98:99], 0xb87de8d9b61c91a5
	v_mov_b32_e32 v17, v7
	v_pk_fma_f32 v[6:7], v[8:9], v[20:21], v[12:13] op_sel_hi:[0,1,1]
	v_mov_b64_e32 v[20:21], 0x39f8a3a037e18d8d
	v_mov_b64_e32 v[12:13], 0x3d4172bb3c2a1bb5
	s_delay_alu instid0(VALU_DEP_4) | instskip(NEXT) | instid1(VALU_DEP_4)
	v_pk_fma_f32 v[16:17], v[8:9], v[16:17], v[98:99] op_sel_hi:[0,1,1]
	v_pk_fma_f32 v[6:7], v[8:9], v[6:7], v[100:101] op_sel_hi:[0,1,1]
	v_mov_b64_e32 v[100:101], 0xbb564625b99a480a
	v_mov_b64_e32 v[98:99], 0xbfb26435be514b60
	v_pk_fma_f32 v[4:5], v[8:9], v[4:5], v[12:13] op_sel_hi:[0,1,1]
	v_pk_fma_f32 v[16:17], v[8:9], v[16:17], v[20:21] op_sel_hi:[0,1,1]
	;; [unrolled: 1-line block ×3, first 2 shown]
	v_mov_b64_e32 v[12:13], 0x3c9d30f73b48e65f
	v_mov_b64_e32 v[20:21], 0x3d0edd663d2f9553
	;; [unrolled: 1-line block ×3, first 2 shown]
	v_pk_fma_f32 v[16:17], v[8:9], v[16:17], v[100:101] op_sel_hi:[0,1,1]
	v_pk_fma_f32 v[6:7], v[8:9], v[6:7], v[112:113] op_sel_hi:[0,1,1]
	;; [unrolled: 1-line block ×3, first 2 shown]
	v_mov_b64_e32 v[98:99], 0xbdb7eb7dbd008cf6
	v_mov_b64_e32 v[100:101], 0xbda9a2babe046afd
	v_pk_fma_f32 v[12:13], v[8:9], v[16:17], v[12:13] op_sel_hi:[0,1,1]
	v_pk_fma_f32 v[6:7], v[8:9], v[6:7], v[20:21] op_sel_hi:[0,1,1]
	v_mov_b64_e32 v[16:17], 0x413d8a783fde6016
	v_mov_b64_e32 v[20:21], 0x3ea09e283eb9b1b0
	s_delay_alu instid0(VALU_DEP_4) | instskip(NEXT) | instid1(VALU_DEP_4)
	v_pk_fma_f32 v[12:13], v[8:9], v[12:13], v[98:99] op_sel_hi:[0,1,1]
	v_pk_fma_f32 v[6:7], v[8:9], v[6:7], v[100:101] op_sel_hi:[0,1,1]
	s_delay_alu instid0(VALU_DEP_4) | instskip(NEXT) | instid1(VALU_DEP_3)
	v_pk_fma_f32 v[2:3], v[8:9], v[4:5], v[16:17] op_sel_hi:[0,1,1]
	v_pk_fma_f32 v[4:5], v[8:9], v[12:13], v[20:21] op_sel_hi:[0,1,1]
	s_delay_alu instid0(VALU_DEP_3)
	v_pk_fma_f32 v[6:7], v[8:9], v[6:7], v[102:103] op_sel_hi:[0,1,1]
                                        ; implicit-def: $vgpr8
.LBB0_48:
	s_and_not1_saveexec_b32 s7, s0
	s_cbranch_execz .LBB0_78
; %bb.49:
	s_mov_b32 s0, exec_lo
                                        ; implicit-def: $vgpr5
                                        ; implicit-def: $vgpr2_vgpr3
	v_cmpx_ge_f32_e32 0x40a00000, v8
	s_xor_b32 s0, exec_lo, s0
	s_cbranch_execz .LBB0_51
; %bb.50:
	v_mov_b64_e32 v[0:1], 0x2a18ee8026d61ce4
	v_add_f32_e32 v6, 0xc0400000, v8
	v_mov_b32_e32 v3, 0xac21b027
	v_mov_b32_e32 v2, 0xaa160d59
	v_mov_b64_e32 v[4:5], 0xac8675032c8f262f
	v_mov_b64_e32 v[8:9], 0x303c235baec98007
	;; [unrolled: 1-line block ×4, first 2 shown]
	v_pk_fma_f32 v[16:17], v[6:7], v[0:1], v[2:3] op_sel_hi:[0,1,1]
	v_pk_fma_f32 v[2:3], v[6:7], v[0:1], v[2:3] neg_lo:[1,0,0] neg_hi:[1,0,0]
	v_mov_b32_e32 v112, 0x2d3d0c80
	v_mov_b64_e32 v[98:99], 0x366a1bcb3543cc7f
	v_mov_b64_e32 v[114:115], 0x304f52d5af22fa6a
	v_mov_b32_e32 v3, v17
	v_mov_b64_e32 v[100:101], 0xb8e3f2beb74e8ece
	s_mov_b32 s8, 0xa68c7d15
	v_mov_b64_e32 v[116:117], 0xb118157ab113fe48
	v_mov_b64_e32 v[16:17], 0x3b0858d03945f7b2
	v_pk_fma_f32 v[2:3], v[6:7], v[2:3], v[4:5] op_sel_hi:[0,1,1]
	v_mov_b32_e32 v7, 0x2e8d10d0
	v_mov_b64_e32 v[4:5], 0x2b98b6fb2b0d8684
	s_mov_b32 s1, 0xa883d0e0
	s_mov_b32 s2, 0x2951c74e
	v_mov_b32_e32 v40, 0x2b558be6
	v_pk_fma_f32 v[2:3], v[6:7], v[2:3], v[8:9] op_sel_hi:[0,1,1]
	v_mov_b64_e32 v[8:9], 0xb41b809d331cf11f
	v_mov_b64_e32 v[102:103], 0xbcee8e49bb25fa77
	;; [unrolled: 1-line block ×4, first 2 shown]
	v_pk_fma_f32 v[2:3], v[6:7], v[2:3], v[12:13] op_sel_hi:[0,1,1]
	v_pk_fma_f32 v[12:13], v[6:7], v[4:5], v[6:7] op_sel_hi:[0,1,1] neg_lo:[1,0,0] neg_hi:[1,0,0]
	v_pk_fma_f32 v[4:5], v[6:7], v[4:5], v[112:113]
	v_mov_b64_e32 v[112:113], 0x2c5f4f4a2c070e7f
	v_mov_b32_e32 v12, 0x2951c74e
	v_pk_fma_f32 v[2:3], v[6:7], v[2:3], v[20:21] op_sel_hi:[0,1,1]
	v_mov_b32_e32 v7, 0x2e3e145e
	v_dual_mov_b32 v5, v13 :: v_dual_mov_b32 v20, 0x28235b54
	v_fmaak_f32 v21, s8, v6, 0x288e2f5e
	v_fmaak_f32 v13, s1, v6, 0x2a7e0d84
	s_delay_alu instid0(VALU_DEP_4) | instskip(SKIP_2) | instid1(VALU_DEP_4)
	v_pk_fma_f32 v[2:3], v[6:7], v[2:3], v[98:99] op_sel_hi:[0,1,1]
	v_mov_b64_e32 v[98:99], 0xaa7d53a8aa1e3c47
	v_pk_fma_f32 v[4:5], v[6:7], v[4:5], v[114:115] op_sel_hi:[0,1,1]
	v_fmaak_f32 v13, v6, v13, 0xac5b4987
	s_delay_alu instid0(VALU_DEP_4) | instskip(SKIP_1) | instid1(VALU_DEP_4)
	v_pk_fma_f32 v[2:3], v[6:7], v[2:3], v[100:101] op_sel_hi:[0,1,1]
	v_mov_b64_e32 v[100:101], 0xae37027eade52671
	v_pk_fma_f32 v[4:5], v[6:7], v[4:5], v[116:117] op_sel_hi:[0,1,1]
	v_pk_fma_f32 v[20:21], v[6:7], v[20:21], v[98:99] op_sel_hi:[0,1,1]
	;; [unrolled: 1-line block ×4, first 2 shown]
	v_mov_b64_e32 v[98:99], 0xb01bf217ad50b625
	v_pk_fma_f32 v[4:5], v[6:7], v[4:5], v[8:9] op_sel_hi:[0,1,1]
	v_pk_fma_f32 v[16:17], v[6:7], v[20:21], v[112:113] op_sel_hi:[0,1,1]
	v_mov_b64_e32 v[8:9], s[2:3]
	v_mov_b64_e32 v[20:21], 0x300a06902fb566f3
	v_pk_fma_f32 v[2:3], v[6:7], v[2:3], v[102:103] op_sel_hi:[0,1,1]
	v_mov_b64_e32 v[102:103], 0x336e8c7e3332c8ea
	v_pk_fma_f32 v[16:17], v[6:7], v[16:17], v[100:101] op_sel_hi:[0,1,1]
	;; [unrolled: 2-line block ×3, first 2 shown]
	v_pk_fma_f32 v[8:9], v[6:7], v[8:9], v[40:41] neg_lo:[1,0,0] neg_hi:[1,0,0]
	v_mov_b32_e32 v9, v13
	v_pk_fma_f32 v[12:13], v[6:7], v[16:17], v[20:21] op_sel_hi:[0,1,1]
	v_mov_b64_e32 v[20:21], 0x31f0bc082f4cc410
	v_mov_b64_e32 v[16:17], 0xb73452e0b71fc8c5
	;; [unrolled: 1-line block ×3, first 2 shown]
	v_pk_fma_f32 v[8:9], v[6:7], v[8:9], v[98:99] op_sel_hi:[0,1,1]
	v_pk_fma_f32 v[12:13], v[6:7], v[12:13], v[100:101] op_sel_hi:[0,1,1]
	v_mov_b64_e32 v[100:101], 0xb3ae6133b1405f8e
	v_mov_b64_e32 v[98:99], 0x391c9710b963125a
	v_pk_fma_f32 v[0:1], v[6:7], v[2:3], v[0:1] op_sel_hi:[0,1,1]
	v_pk_fma_f32 v[8:9], v[6:7], v[8:9], v[20:21] op_sel_hi:[0,1,1]
	;; [unrolled: 1-line block ×4, first 2 shown]
	v_mov_b64_e32 v[16:17], 0x356b8f5e33323270
	v_mov_b64_e32 v[20:21], 0x36851802367449f8
	v_pk_fma_f32 v[8:9], v[6:7], v[8:9], v[100:101] op_sel_hi:[0,1,1]
	v_pk_fma_f32 v[12:13], v[6:7], v[12:13], v[112:113] op_sel_hi:[0,1,1]
	;; [unrolled: 1-line block ×3, first 2 shown]
	v_mov_b64_e32 v[98:99], 0xb713467bb51f472b
	v_mov_b64_e32 v[100:101], 0xb7e5b1a1b7f2265f
	v_pk_fma_f32 v[8:9], v[6:7], v[8:9], v[16:17] op_sel_hi:[0,1,1]
	v_pk_fma_f32 v[12:13], v[6:7], v[12:13], v[20:21] op_sel_hi:[0,1,1]
	v_mov_b64_e32 v[20:21], 0x38a8b06737090acb
	v_mov_b64_e32 v[102:103], 0x3927e2643952418e
	;; [unrolled: 1-line block ×3, first 2 shown]
	v_pk_fma_f32 v[8:9], v[6:7], v[8:9], v[98:99] op_sel_hi:[0,1,1]
	v_pk_fma_f32 v[12:13], v[6:7], v[12:13], v[100:101] op_sel_hi:[0,1,1]
	v_mov_b64_e32 v[100:101], 0xba2e1a4db8e4911e
	v_mov_b64_e32 v[112:113], 0xba486ccbba9bb3f2
	;; [unrolled: 1-line block ×3, first 2 shown]
	v_pk_fma_f32 v[8:9], v[6:7], v[8:9], v[20:21] op_sel_hi:[0,1,1]
	v_pk_fma_f32 v[12:13], v[6:7], v[12:13], v[102:103] op_sel_hi:[0,1,1]
	;; [unrolled: 1-line block ×3, first 2 shown]
	v_mov_b64_e32 v[16:17], 0x3b9dac6e3ab947dc
	v_mov_b64_e32 v[20:21], 0x3b385f593bbc7d41
	v_pk_fma_f32 v[8:9], v[6:7], v[8:9], v[100:101] op_sel_hi:[0,1,1]
	v_pk_fma_f32 v[12:13], v[6:7], v[12:13], v[112:113] op_sel_hi:[0,1,1]
	;; [unrolled: 1-line block ×3, first 2 shown]
	v_mov_b64_e32 v[98:99], 0xbcecbc0fbc99ac21
	v_mov_b64_e32 v[100:101], 0xbbeab17abcab8a73
	v_pk_fma_f32 v[8:9], v[6:7], v[8:9], v[16:17] op_sel_hi:[0,1,1]
	v_pk_fma_f32 v[12:13], v[6:7], v[12:13], v[20:21] op_sel_hi:[0,1,1]
	v_mov_b64_e32 v[16:17], 0x410185343f9b7470
	v_mov_b64_e32 v[20:21], 0x3e1fff473e946d99
	;; [unrolled: 1-line block ×3, first 2 shown]
	v_pk_fma_f32 v[8:9], v[6:7], v[8:9], v[98:99] op_sel_hi:[0,1,1]
	v_pk_fma_f32 v[12:13], v[6:7], v[12:13], v[100:101] op_sel_hi:[0,1,1]
	;; [unrolled: 1-line block ×3, first 2 shown]
	s_delay_alu instid0(VALU_DEP_3) | instskip(NEXT) | instid1(VALU_DEP_3)
	v_pk_fma_f32 v[4:5], v[6:7], v[8:9], v[20:21] op_sel_hi:[0,1,1]
	v_pk_fma_f32 v[6:7], v[6:7], v[12:13], v[102:103] op_sel_hi:[0,1,1]
                                        ; implicit-def: $vgpr8
.LBB0_51:
	s_and_not1_saveexec_b32 s8, s0
	s_cbranch_execz .LBB0_77
; %bb.52:
	s_mov_b32 s0, exec_lo
                                        ; implicit-def: $vgpr5
                                        ; implicit-def: $vgpr2_vgpr3
	v_cmpx_ge_f32_e32 0x41200000, v8
	s_xor_b32 s0, exec_lo, s0
	s_cbranch_execz .LBB0_54
; %bb.53:
	v_mov_b64_e32 v[0:1], 0x290465b727a7407e
	v_mov_b64_e32 v[2:3], 0x2b6e9696a7e238da
	v_add_f32_e32 v6, 0xc0f00000, v8
	v_mov_b64_e32 v[4:5], 0xad7e70372ac2e816
	v_mov_b64_e32 v[8:9], 0xacd85aabae00bdac
	;; [unrolled: 1-line block ×4, first 2 shown]
	s_mov_b32 s1, 0xa8921ba1
	v_pk_fma_f32 v[0:1], v[6:7], v[0:1], v[2:3] op_sel_hi:[0,1,1]
	v_mov_b64_e32 v[112:113], 0x2ccacda3a9901fe5
	v_mov_b32_e32 v102, 0x290430f6
	v_fmaak_f32 v103, s1, v6, 0x2b58703b
	v_mov_b64_e32 v[2:3], 0x36207eb4347f5fab
	v_pk_fma_f32 v[4:5], v[6:7], v[0:1], v[4:5] op_sel_hi:[0,1,1]
	v_mov_b64_e32 v[20:21], 0xb860bf12b69a739f
	v_mov_b64_e32 v[114:115], 0xb0cafa082ee1dba1
	v_pk_fma_f32 v[102:103], v[6:7], v[102:103], v[112:113] op_sel_hi:[0,1,1]
	v_mov_b64_e32 v[98:99], 0x3a84571b38b0c0c8
	v_pk_fma_f32 v[4:5], v[6:7], v[4:5], v[8:9] op_sel_hi:[0,1,1]
	v_mov_b64_e32 v[8:9], 0xaf17cd6eac3db225
	v_mov_b64_e32 v[116:117], 0x329e5a58b02008f4
	s_mov_b32 s1, 0xa5cdf0a4
	v_mov_b64_e32 v[100:101], 0xbc813ea0bab4db71
	v_pk_fma_f32 v[4:5], v[6:7], v[4:5], v[12:13] op_sel_hi:[0,1,1]
	v_mov_b64_e32 v[12:13], 0x34b3853eb307b878
	s_mov_b32 s9, 0xa38f9ef6
	v_pk_fma_f32 v[8:9], v[6:7], v[102:103], v[8:9] op_sel_hi:[0,1,1]
	v_mov_b64_e32 v[102:103], 0xa782a98ba7417bc5
	v_pk_fma_f32 v[4:5], v[6:7], v[4:5], v[16:17] op_sel_hi:[0,1,1]
	s_mov_b32 s2, 0x26ef395d
	v_mov_b32_e32 v16, 0x26ef395d
	v_pk_fma_f32 v[8:9], v[6:7], v[8:9], v[114:115] op_sel_hi:[0,1,1]
	v_mov_b32_e32 v112, 0x299bc9cd
	v_pk_fma_f32 v[2:3], v[6:7], v[4:5], v[2:3] op_sel_hi:[0,1,1]
	v_mov_b32_e32 v4, 0x253def64
	v_fmaak_f32 v5, s9, v6, 0x25944318
	v_mov_b64_e32 v[118:119], 0xb5bb233934e85143
	v_mov_b64_e32 v[0:1], 0x3e330ce13c888106
	v_pk_fma_f32 v[2:3], v[6:7], v[2:3], v[20:21] op_sel_hi:[0,1,1]
	v_fmaak_f32 v7, s1, v6, 0x27e16f6a
	v_mov_b64_e32 v[20:21], 0x296bc062292aa2ef
	s_delay_alu instid0(VALU_DEP_2) | instskip(NEXT) | instid1(VALU_DEP_4)
	v_pk_fma_f32 v[8:9], v[6:7], v[8:9], v[116:117] op_sel_hi:[0,1,1]
	v_pk_fma_f32 v[2:3], v[6:7], v[2:3], v[98:99] op_sel_hi:[0,1,1]
	;; [unrolled: 1-line block ×3, first 2 shown]
	v_fmaak_f32 v17, v6, v7, 0xa9d97501
	v_mov_b64_e32 v[98:99], 0xab46ebdcab1b0ff1
	v_pk_fma_f32 v[8:9], v[6:7], v[8:9], v[12:13] op_sel_hi:[0,1,1]
	v_pk_fma_f32 v[2:3], v[6:7], v[2:3], v[100:101] op_sel_hi:[0,1,1]
	v_mov_b32_e32 v7, 0x2bd4368f
	v_mov_b64_e32 v[12:13], s[2:3]
	v_mov_b64_e32 v[100:101], 0xaedd3dc5aed51817
	;; [unrolled: 1-line block ×3, first 2 shown]
	s_delay_alu instid0(VALU_DEP_4) | instskip(NEXT) | instid1(VALU_DEP_4)
	v_pk_fma_f32 v[16:17], v[6:7], v[16:17], v[6:7] op_sel_hi:[0,1,1]
	v_pk_fma_f32 v[12:13], v[6:7], v[12:13], v[112:113] neg_lo:[1,0,0] neg_hi:[1,0,0]
	v_mov_b64_e32 v[112:113], 0xb22a576bb25d3a64
	s_delay_alu instid0(VALU_DEP_3)
	v_mov_b32_e32 v13, v17
	v_pk_fma_f32 v[4:5], v[6:7], v[4:5], v[20:21] op_sel_hi:[0,1,1]
	v_mov_b64_e32 v[20:21], 0x2d1ab2762d04ecbc
	v_mov_b64_e32 v[16:17], 0xb89d56b436a2f753
	v_pk_fma_f32 v[8:9], v[6:7], v[8:9], v[118:119] op_sel_hi:[0,1,1]
	v_pk_fma_f32 v[0:1], v[6:7], v[2:3], v[0:1] op_sel_hi:[0,1,1]
	;; [unrolled: 1-line block ×3, first 2 shown]
	v_mov_b64_e32 v[98:99], 0xadcd2bbbab8082b3
	s_delay_alu instid0(VALU_DEP_4) | instskip(NEXT) | instid1(VALU_DEP_3)
	v_pk_fma_f32 v[8:9], v[6:7], v[8:9], v[16:17] op_sel_hi:[0,1,1]
	v_pk_fma_f32 v[4:5], v[6:7], v[4:5], v[20:21] op_sel_hi:[0,1,1]
	v_mov_b64_e32 v[20:21], 0x2fbc7c7d2d76e0e6
	v_mov_b64_e32 v[16:17], 0x338592b031dac465
	v_pk_fma_f32 v[12:13], v[6:7], v[12:13], v[98:99] op_sel_hi:[0,1,1]
	v_mov_b64_e32 v[98:99], 0xba243b6eb9857e40
	v_pk_fma_f32 v[4:5], v[6:7], v[4:5], v[100:101] op_sel_hi:[0,1,1]
	v_mov_b64_e32 v[100:101], 0xb1a17279afc9e21d
	s_delay_alu instid0(VALU_DEP_4) | instskip(SKIP_1) | instid1(VALU_DEP_4)
	v_pk_fma_f32 v[12:13], v[6:7], v[12:13], v[20:21] op_sel_hi:[0,1,1]
	v_mov_b64_e32 v[20:21], 0x33b37e92340dadfc
	v_pk_fma_f32 v[4:5], v[6:7], v[4:5], v[102:103] op_sel_hi:[0,1,1]
	v_pk_fma_f32 v[8:9], v[6:7], v[8:9], v[98:99] op_sel_hi:[0,1,1]
	v_mov_b64_e32 v[98:99], 0xb5522ff6b3df2bba
	v_pk_fma_f32 v[12:13], v[6:7], v[12:13], v[100:101] op_sel_hi:[0,1,1]
	v_mov_b64_e32 v[100:101], 0xb5265f5bb5a5fe09
	v_pk_fma_f32 v[4:5], v[6:7], v[4:5], v[112:113] op_sel_hi:[0,1,1]
	v_mov_b64_e32 v[102:103], 0x3684d27f372ecd2e
	v_mov_b64_e32 v[112:113], 0xb7b14eabb8a37ca2
	v_pk_fma_f32 v[12:13], v[6:7], v[12:13], v[16:17] op_sel_hi:[0,1,1]
	v_mov_b64_e32 v[16:17], 0x3d4065563bb5cfa3
	v_pk_fma_f32 v[4:5], v[6:7], v[4:5], v[20:21] op_sel_hi:[0,1,1]
	v_mov_b64_e32 v[20:21], 0x371871013603790f
	s_delay_alu instid0(VALU_DEP_4) | instskip(SKIP_1) | instid1(VALU_DEP_4)
	v_pk_fma_f32 v[12:13], v[6:7], v[12:13], v[98:99] op_sel_hi:[0,1,1]
	v_mov_b64_e32 v[98:99], 0xbf2ab814bda2d194
	v_pk_fma_f32 v[4:5], v[6:7], v[4:5], v[100:101] op_sel_hi:[0,1,1]
	v_mov_b64_e32 v[100:101], 0xb8cedb3fb80bde98
	v_pk_fma_f32 v[8:9], v[6:7], v[8:9], v[16:17] op_sel_hi:[0,1,1]
	v_pk_fma_f32 v[12:13], v[6:7], v[12:13], v[20:21] op_sel_hi:[0,1,1]
	v_mov_b64_e32 v[16:17], 0x3a7e2eef3a15fd4a
	v_pk_fma_f32 v[4:5], v[6:7], v[4:5], v[102:103] op_sel_hi:[0,1,1]
	v_mov_b64_e32 v[20:21], 0x38bcd7df3a03e6ac
	v_pk_fma_f32 v[8:9], v[6:7], v[8:9], v[98:99] op_sel_hi:[0,1,1]
	v_pk_fma_f32 v[12:13], v[6:7], v[12:13], v[100:101] op_sel_hi:[0,1,1]
	v_mov_b64_e32 v[98:99], 0xbc05768fbc2cfccf
	v_pk_fma_f32 v[4:5], v[6:7], v[4:5], v[112:113] op_sel_hi:[0,1,1]
	v_mov_b64_e32 v[100:101], 0xb99228f0bb273532
	v_mov_b64_e32 v[102:103], 0x3a0a07c13c398ccd
	v_pk_fma_f32 v[12:13], v[6:7], v[12:13], v[16:17] op_sel_hi:[0,1,1]
	v_mov_b64_e32 v[16:17], 0x4083961f3f385f6e
	v_pk_fma_f32 v[4:5], v[6:7], v[4:5], v[20:21] op_sel_hi:[0,1,1]
	v_mov_b64_e32 v[20:21], 0x3dae1fef3e682303
	s_delay_alu instid0(VALU_DEP_4) | instskip(NEXT) | instid1(VALU_DEP_3)
	v_pk_fma_f32 v[12:13], v[6:7], v[12:13], v[98:99] op_sel_hi:[0,1,1]
	v_pk_fma_f32 v[98:99], v[6:7], v[4:5], v[100:101] op_sel_hi:[0,1,1]
	;; [unrolled: 1-line block ×3, first 2 shown]
                                        ; implicit-def: $vgpr8
	s_delay_alu instid0(VALU_DEP_3) | instskip(NEXT) | instid1(VALU_DEP_3)
	v_pk_fma_f32 v[4:5], v[6:7], v[12:13], v[20:21] op_sel_hi:[0,1,1]
	v_pk_fma_f32 v[6:7], v[6:7], v[98:99], v[102:103] op_sel_hi:[0,1,1]
.LBB0_54:
	s_and_not1_saveexec_b32 s9, s0
	s_cbranch_execz .LBB0_76
; %bb.55:
                                        ; implicit-def: $vgpr5
                                        ; implicit-def: $vgpr2_vgpr3
	s_mov_b32 s0, exec_lo
	v_cmpx_ge_f32_e32 0x41700000, v8
	s_xor_b32 s1, exec_lo, s0
	s_cbranch_execz .LBB0_57
; %bb.56:
	v_mov_b64_e32 v[0:1], 0x260d0261246437e5
	v_mov_b64_e32 v[2:3], 0x283fa7d826679cea
	v_add_f32_e32 v4, 0xc1480000, v8
	s_mov_b32 s0, 0x2950b415
	v_mov_b64_e32 v[6:7], 0xad3042c629fcf12e
	v_mov_b32_e32 v12, 0x262b4edc
	s_delay_alu instid0(VALU_DEP_3) | instskip(SKIP_1) | instid1(VALU_DEP_1)
	v_pk_fma_f32 v[0:1], v[4:5], v[0:1], v[2:3] op_sel_hi:[0,1,1]
	v_mov_b64_e32 v[2:3], 0xa975471ba7c9bad2
	v_pk_fma_f32 v[0:1], v[4:5], v[0:1], v[2:3] op_sel_hi:[0,1,1]
	v_mov_b64_e32 v[2:3], 0xabe31927aa1b39e8
	s_delay_alu instid0(VALU_DEP_1) | instskip(SKIP_1) | instid1(VALU_DEP_1)
	v_pk_fma_f32 v[0:1], v[4:5], v[0:1], v[2:3] op_sel_hi:[0,1,1]
	v_mov_b64_e32 v[2:3], 0x2c8993c32b45373d
	v_pk_fma_f32 v[0:1], v[4:5], v[0:1], v[2:3] op_sel_hi:[0,1,1]
	v_mov_b64_e32 v[2:3], 0x2f51b0c72d656312
	s_delay_alu instid0(VALU_DEP_1) | instskip(SKIP_1) | instid1(VALU_DEP_1)
	;; [unrolled: 5-line block ×5, first 2 shown]
	v_pk_fma_f32 v[0:1], v[4:5], v[0:1], v[2:3] op_sel_hi:[0,1,1]
	v_mov_b64_e32 v[2:3], 0x3ded362a3c3b1679
	v_pk_fma_f32 v[0:1], v[4:5], v[0:1], v[2:3] op_sel_hi:[0,1,1]
	v_fmaak_f32 v3, s0, v4, 0xa954e934
	v_mov_b32_e32 v2, 0x2989e793
	s_mov_b32 s0, 0x22564758
	s_delay_alu instid0(VALU_DEP_1) | instskip(SKIP_1) | instid1(VALU_DEP_1)
	v_pk_fma_f32 v[2:3], v[4:5], v[2:3], v[6:7] op_sel_hi:[0,1,1]
	v_mov_b64_e32 v[6:7], 0x2e859230ad1f3a81
	v_pk_fma_f32 v[2:3], v[4:5], v[2:3], v[6:7] op_sel_hi:[0,1,1]
	v_mov_b64_e32 v[6:7], 0x30d8bcf1ae524e41
	s_delay_alu instid0(VALU_DEP_1) | instskip(SKIP_1) | instid1(VALU_DEP_1)
	v_pk_fma_f32 v[2:3], v[4:5], v[2:3], v[6:7] op_sel_hi:[0,1,1]
	v_mov_b64_e32 v[6:7], 0xb2acd15c30e44339
	v_pk_fma_f32 v[2:3], v[4:5], v[2:3], v[6:7] op_sel_hi:[0,1,1]
	v_mov_b64_e32 v[6:7], 0xb44623462ff756a0
	;; [unrolled: 5-line block ×5, first 2 shown]
	s_delay_alu instid0(VALU_DEP_1)
	v_pk_fma_f32 v[2:3], v[4:5], v[2:3], v[6:7] op_sel_hi:[0,1,1]
	v_fmaak_f32 v7, s0, v4, 0xa455b366
	s_mov_b32 s0, 0x24417dfb
	v_mov_b32_e32 v6, 0x24417dfb
	v_mov_b64_e32 v[16:17], s[0:1]
	s_mov_b32 s0, 0xa7e03286
	s_delay_alu instid0(VALU_DEP_1) | instskip(SKIP_1) | instid1(VALU_DEP_1)
	v_pk_fma_f32 v[12:13], v[4:5], v[16:17], v[12:13] neg_lo:[1,0,0] neg_hi:[1,0,0]
	v_mov_b32_e32 v5, 0x2634d615
	v_pk_fma_f32 v[6:7], v[4:5], v[6:7], v[4:5] op_sel_hi:[0,1,1]
	s_delay_alu instid0(VALU_DEP_1) | instskip(SKIP_1) | instid1(VALU_DEP_1)
	v_mov_b32_e32 v13, v7
	v_mov_b64_e32 v[6:7], 0xa820fa09a84ef2f0
	v_pk_fma_f32 v[6:7], v[4:5], v[12:13], v[6:7] op_sel_hi:[0,1,1]
	v_mov_b64_e32 v[12:13], 0x2a06836f2a53d0e5
	s_delay_alu instid0(VALU_DEP_1) | instskip(SKIP_1) | instid1(VALU_DEP_1)
	v_pk_fma_f32 v[6:7], v[4:5], v[6:7], v[12:13] op_sel_hi:[0,1,1]
	v_mov_b64_e32 v[12:13], 0xabccc660ac29d6bc
	v_pk_fma_f32 v[6:7], v[4:5], v[6:7], v[12:13] op_sel_hi:[0,1,1]
	v_mov_b64_e32 v[12:13], 0x2d9055f82e144ec8
	s_delay_alu instid0(VALU_DEP_1) | instskip(SKIP_1) | instid1(VALU_DEP_1)
	v_pk_fma_f32 v[6:7], v[4:5], v[6:7], v[12:13] op_sel_hi:[0,1,1]
	;; [unrolled: 5-line block ×6, first 2 shown]
	v_fmaak_f32 v5, s0, v4, 0x29ea7905
	v_fmaak_f32 v5, v4, v5, 0xab4098d2
	s_delay_alu instid0(VALU_DEP_1) | instskip(NEXT) | instid1(VALU_DEP_1)
	v_fmaak_f32 v5, v4, v5, 0x2d8ab352
	v_fmaak_f32 v5, v4, v5, 0xafe71d52
	s_delay_alu instid0(VALU_DEP_1) | instskip(NEXT) | instid1(VALU_DEP_1)
	;; [unrolled: 3-line block ×3, first 2 shown]
	v_fmaak_f32 v5, v4, v5, 0x35b6103b
	v_fmaak_f32 v5, v4, v5, 0xb7ae89be
	s_delay_alu instid0(VALU_DEP_1) | instskip(SKIP_1) | instid1(VALU_DEP_1)
	v_mul_f32_e32 v13, v4, v5
	v_div_scale_f32 v5, null, v8, v8, 0xbe405aee
	v_rcp_f32_e32 v9, v5
	v_nop
	s_delay_alu instid0(TRANS32_DEP_1) | instskip(NEXT) | instid1(VALU_DEP_1)
	v_fma_f32 v12, -v5, v9, 1.0
	v_fmac_f32_e32 v9, v12, v9
	v_div_scale_f32 v12, vcc_lo, 0xbe405aee, v8, 0xbe405aee
	s_delay_alu instid0(VALU_DEP_1) | instskip(NEXT) | instid1(VALU_DEP_1)
	v_mul_f32_e32 v16, v12, v9
	v_fma_f32 v17, -v5, v16, v12
	s_delay_alu instid0(VALU_DEP_1) | instskip(NEXT) | instid1(VALU_DEP_1)
	v_fmac_f32_e32 v16, v17, v9
	v_fma_f32 v5, -v5, v16, v12
	s_delay_alu instid0(VALU_DEP_1) | instskip(NEXT) | instid1(VALU_DEP_1)
	v_div_fmas_f32 v5, v5, v9, v16
	v_div_fixup_f32 v5, v5, v8, 0xbe405aee
	s_delay_alu instid0(VALU_DEP_1) | instskip(NEXT) | instid1(VALU_DEP_1)
	v_add_f32_e32 v5, 0x3e6b6fc1, v5
	v_div_scale_f32 v9, null, v8, v8, v5
	s_delay_alu instid0(VALU_DEP_1) | instskip(SKIP_1) | instid1(TRANS32_DEP_1)
	v_rcp_f32_e32 v12, v9
	v_nop
	v_fma_f32 v16, -v9, v12, 1.0
	s_delay_alu instid0(VALU_DEP_1) | instskip(SKIP_1) | instid1(VALU_DEP_1)
	v_fmac_f32_e32 v12, v16, v12
	v_div_scale_f32 v16, vcc_lo, v5, v8, v5
	v_mul_f32_e32 v17, v16, v12
	s_delay_alu instid0(VALU_DEP_1) | instskip(NEXT) | instid1(VALU_DEP_1)
	v_fma_f32 v20, -v9, v17, v16
	v_fmac_f32_e32 v17, v20, v12
	s_delay_alu instid0(VALU_DEP_1) | instskip(NEXT) | instid1(VALU_DEP_1)
	v_fma_f32 v9, -v9, v17, v16
	v_div_fmas_f32 v9, v9, v12, v17
	s_delay_alu instid0(VALU_DEP_1) | instskip(NEXT) | instid1(VALU_DEP_1)
	v_div_fixup_f32 v5, v9, v8, v5
	v_add_f32_e32 v5, 0xbeff74bd, v5
	s_delay_alu instid0(VALU_DEP_1) | instskip(NEXT) | instid1(VALU_DEP_1)
	v_div_scale_f32 v9, null, v8, v8, v5
	v_rcp_f32_e32 v12, v9
	v_nop
	s_delay_alu instid0(TRANS32_DEP_1) | instskip(NEXT) | instid1(VALU_DEP_1)
	v_fma_f32 v16, -v9, v12, 1.0
	v_fmac_f32_e32 v12, v16, v12
	v_div_scale_f32 v16, vcc_lo, v5, v8, v5
	s_delay_alu instid0(VALU_DEP_1) | instskip(NEXT) | instid1(VALU_DEP_1)
	v_mul_f32_e32 v17, v16, v12
	v_fma_f32 v20, -v9, v17, v16
	s_delay_alu instid0(VALU_DEP_1) | instskip(NEXT) | instid1(VALU_DEP_1)
	v_fmac_f32_e32 v17, v20, v12
	v_fma_f32 v9, -v9, v17, v16
	s_delay_alu instid0(VALU_DEP_1) | instskip(SKIP_1) | instid1(VALU_DEP_2)
	v_div_fmas_f32 v9, v9, v12, v17
	v_cmp_nlt_f32_e32 vcc_lo, 0x42ce8ed0, v8
	v_div_fixup_f32 v12, v9, v8, v5
	v_mul_f32_e32 v5, 0xbfb8aa3b, v8
	s_delay_alu instid0(VALU_DEP_1) | instskip(NEXT) | instid1(VALU_DEP_1)
	v_rndne_f32_e32 v9, v5
	v_sub_f32_e32 v16, v5, v9
	v_fma_f32 v5, 0xbfb8aa3b, v8, -v5
	v_cvt_i32_f32_e32 v9, v9
	s_delay_alu instid0(VALU_DEP_2) | instskip(NEXT) | instid1(VALU_DEP_1)
	v_fmamk_f32 v5, v8, 0xb2a5705f, v5
	v_add_f32_e32 v5, v16, v5
	s_delay_alu instid0(VALU_DEP_1) | instskip(SKIP_1) | instid1(TRANS32_DEP_1)
	v_exp_f32_e32 v5, v5
	v_nop
	v_ldexp_f32 v5, v5, v9
	s_delay_alu instid0(VALU_DEP_1) | instskip(SKIP_1) | instid1(VALU_DEP_2)
	v_cndmask_b32_e32 v5, 0, v5, vcc_lo
	v_cmp_ngt_f32_e32 vcc_lo, 0xc2b17218, v8
	v_cndmask_b32_e32 v16, 0x7f800000, v5, vcc_lo
	v_div_scale_f32 v5, null, v8, v8, 0x3f490fdb
	s_delay_alu instid0(VALU_DEP_1) | instskip(SKIP_1) | instid1(TRANS32_DEP_1)
	v_rcp_f32_e32 v9, v5
	v_nop
	v_fma_f32 v17, -v5, v9, 1.0
	s_delay_alu instid0(VALU_DEP_1) | instskip(SKIP_1) | instid1(VALU_DEP_1)
	v_fmac_f32_e32 v9, v17, v9
	v_div_scale_f32 v17, vcc_lo, 0x3f490fdb, v8, 0x3f490fdb
	v_mul_f32_e32 v20, v17, v9
	s_delay_alu instid0(VALU_DEP_1) | instskip(NEXT) | instid1(VALU_DEP_1)
	v_fma_f32 v21, -v5, v20, v17
	v_fmac_f32_e32 v20, v21, v9
	s_delay_alu instid0(VALU_DEP_1) | instskip(NEXT) | instid1(VALU_DEP_1)
	v_fma_f32 v5, -v5, v20, v17
	v_div_fmas_f32 v5, v5, v9, v20
	v_mov_b64_e32 v[20:21], 0x3984541eb7b7d95a
	s_delay_alu instid0(VALU_DEP_2) | instskip(NEXT) | instid1(VALU_DEP_2)
	v_div_fixup_f32 v5, v5, v8, 0x3f490fdb
	v_pk_add_f32 v[12:13], v[12:13], v[20:21]
	s_delay_alu instid0(VALU_DEP_2) | instskip(SKIP_1) | instid1(VALU_DEP_1)
	v_cmp_gt_f32_e32 vcc_lo, 0xf800000, v5
	v_mul_f32_e32 v8, 0x4f800000, v5
	v_cndmask_b32_e32 v5, v5, v8, vcc_lo
	s_delay_alu instid0(VALU_DEP_1) | instskip(SKIP_1) | instid1(TRANS32_DEP_1)
	v_sqrt_f32_e32 v8, v5
	v_nop
	v_add_nc_u32_e32 v9, -1, v8
	s_delay_alu instid0(VALU_DEP_1) | instskip(NEXT) | instid1(VALU_DEP_1)
	v_fma_f32 v17, -v9, v8, v5
	v_cmp_ge_f32_e64 s0, 0, v17
	s_delay_alu instid0(VALU_DEP_1) | instskip(NEXT) | instid1(VALU_DEP_1)
	v_dual_add_nc_u32 v17, 1, v8 :: v_dual_cndmask_b32 v9, v8, v9, s0
	v_fma_f32 v8, -v17, v8, v5
	s_delay_alu instid0(VALU_DEP_1) | instskip(NEXT) | instid1(VALU_DEP_1)
	v_cmp_lt_f32_e64 s0, 0, v8
	v_dual_cndmask_b32 v8, v9, v17, s0 :: v_dual_mov_b32 v17, v4
	s_delay_alu instid0(VALU_DEP_1) | instskip(NEXT) | instid1(VALU_DEP_1)
	v_mul_f32_e32 v9, 0x37800000, v8
	v_cndmask_b32_e32 v8, v8, v9, vcc_lo
	v_cmp_class_f32_e64 vcc_lo, v5, 0x260
	s_delay_alu instid0(VALU_DEP_2) | instskip(NEXT) | instid1(VALU_DEP_1)
	v_dual_mov_b32 v9, 0xbb40fe3a :: v_dual_cndmask_b32 v8, v8, v5
	v_pk_fma_f32 v[8:9], v[16:17], v[12:13], v[8:9]
	s_delay_alu instid0(VALU_DEP_1) | instskip(NEXT) | instid1(VALU_DEP_1)
	v_sub_f32_e32 v5, v8, v7
	v_sub_f32_e32 v8, v5, v6
	s_delay_alu instid0(VALU_DEP_3) | instskip(NEXT) | instid1(VALU_DEP_1)
	v_fmaak_f32 v5, v9, v4, 0x3d7654f6
	v_sub_f32_e32 v4, v8, v5
                                        ; implicit-def: $vgpr8
.LBB0_57:
	s_and_not1_saveexec_b32 s10, s1
	s_cbranch_execz .LBB0_75
; %bb.58:
                                        ; implicit-def: $vgpr5
                                        ; implicit-def: $vgpr2_vgpr3
	s_mov_b32 s0, exec_lo
	v_cmpx_ge_f32_e32 0x41a00000, v8
	s_xor_b32 s1, exec_lo, s0
	s_cbranch_execz .LBB0_60
; %bb.59:
	v_div_scale_f32 v0, null, v8, v8, 0x3f490fdb
	v_add_f32_e32 v12, 0xc18c0000, v8
	v_mov_b64_e32 v[6:7], 0x27c3e3432709fd34
	v_mov_b32_e32 v5, 0xa5056e00
	s_delay_alu instid0(VALU_DEP_4) | instskip(SKIP_1) | instid1(TRANS32_DEP_1)
	v_rcp_f32_e32 v1, v0
	v_mov_b32_e32 v16, 0x259aec42
	v_fma_f32 v2, -v0, v1, 1.0
	s_delay_alu instid0(VALU_DEP_1) | instskip(SKIP_1) | instid1(VALU_DEP_1)
	v_fmac_f32_e32 v1, v2, v1
	v_div_scale_f32 v2, vcc_lo, 0x3f490fdb, v8, 0x3f490fdb
	v_mul_f32_e32 v3, v2, v1
	s_delay_alu instid0(VALU_DEP_1) | instskip(NEXT) | instid1(VALU_DEP_1)
	v_fma_f32 v4, -v0, v3, v2
	v_fmac_f32_e32 v3, v4, v1
	s_delay_alu instid0(VALU_DEP_1) | instskip(NEXT) | instid1(VALU_DEP_1)
	v_fma_f32 v0, -v0, v3, v2
	v_div_fmas_f32 v0, v0, v1, v3
	s_delay_alu instid0(VALU_DEP_1) | instskip(NEXT) | instid1(VALU_DEP_1)
	v_div_fixup_f32 v0, v0, v8, 0x3f490fdb
	v_cmp_gt_f32_e32 vcc_lo, 0xf800000, v0
	v_mul_f32_e32 v1, 0x4f800000, v0
	s_delay_alu instid0(VALU_DEP_1) | instskip(NEXT) | instid1(VALU_DEP_1)
	v_cndmask_b32_e32 v0, v0, v1, vcc_lo
	v_sqrt_f32_e32 v1, v0
	v_nop
	s_delay_alu instid0(TRANS32_DEP_1) | instskip(NEXT) | instid1(VALU_DEP_1)
	v_add_nc_u32_e32 v2, -1, v1
	v_fma_f32 v3, -v2, v1, v0
	s_delay_alu instid0(VALU_DEP_1) | instskip(NEXT) | instid1(VALU_DEP_1)
	v_cmp_ge_f32_e64 s0, 0, v3
	v_dual_add_nc_u32 v3, 1, v1 :: v_dual_cndmask_b32 v2, v1, v2, s0
	s_delay_alu instid0(VALU_DEP_1) | instskip(NEXT) | instid1(VALU_DEP_1)
	v_fma_f32 v1, -v3, v1, v0
	v_cmp_lt_f32_e64 s0, 0, v1
	s_delay_alu instid0(VALU_DEP_1) | instskip(SKIP_1) | instid1(VALU_DEP_1)
	v_cndmask_b32_e64 v1, v2, v3, s0
	s_mov_b32 s0, 0xa15f6467
	v_mul_f32_e32 v2, 0x37800000, v1
	s_delay_alu instid0(VALU_DEP_1) | instskip(SKIP_2) | instid1(VALU_DEP_3)
	v_cndmask_b32_e32 v1, v1, v2, vcc_lo
	v_cmp_class_f32_e64 vcc_lo, v0, 0x260
	v_mov_b64_e32 v[2:3], 0xa5964d55a5021e92
	v_cndmask_b32_e32 v4, v1, v0, vcc_lo
	v_mov_b64_e32 v[0:1], 0x260fcd4b244964a5
	s_delay_alu instid0(VALU_DEP_1) | instskip(SKIP_1) | instid1(VALU_DEP_1)
	v_pk_fma_f32 v[0:1], v[12:13], v[0:1], v[2:3] op_sel_hi:[0,1,1]
	v_mov_b64_e32 v[2:3], 0xa9af14baa7dd9259
	v_pk_fma_f32 v[0:1], v[12:13], v[0:1], v[2:3] op_sel_hi:[0,1,1]
	v_mov_b64_e32 v[2:3], 0x2b224d2b29830f5a
	s_delay_alu instid0(VALU_DEP_1) | instskip(SKIP_1) | instid1(VALU_DEP_1)
	v_pk_fma_f32 v[0:1], v[12:13], v[0:1], v[2:3] op_sel_hi:[0,1,1]
	v_mov_b64_e32 v[2:3], 0x2ce254952af781ba
	v_pk_fma_f32 v[0:1], v[12:13], v[0:1], v[2:3] op_sel_hi:[0,1,1]
	;; [unrolled: 5-line block ×6, first 2 shown]
	v_mov_b32_e32 v2, 0x28861042
	s_delay_alu instid0(VALU_DEP_1) | instskip(SKIP_1) | instid1(VALU_DEP_1)
	v_pk_fma_f32 v[2:3], v[12:13], v[6:7], v[2:3]
	v_mov_b32_e32 v3, 0xa9fd4a43
	v_pk_fma_f32 v[6:7], v[12:13], v[6:7], v[2:3] op_sel_hi:[0,1,1] neg_lo:[1,0,0] neg_hi:[1,0,0]
	s_delay_alu instid0(VALU_DEP_1) | instskip(SKIP_1) | instid1(VALU_DEP_1)
	v_mov_b32_e32 v3, v7
	v_mov_b64_e32 v[6:7], 0x2c46e7a4aaf30573
	v_pk_fma_f32 v[2:3], v[12:13], v[2:3], v[6:7] op_sel_hi:[0,1,1]
	v_mov_b64_e32 v[6:7], 0xad5ed8a62ba6fc04
	s_delay_alu instid0(VALU_DEP_1) | instskip(SKIP_1) | instid1(VALU_DEP_1)
	v_pk_fma_f32 v[2:3], v[12:13], v[2:3], v[6:7] op_sel_hi:[0,1,1]
	v_mov_b64_e32 v[6:7], 0xafea20322e4b015d
	v_pk_fma_f32 v[2:3], v[12:13], v[2:3], v[6:7] op_sel_hi:[0,1,1]
	v_mov_b64_e32 v[6:7], 0x32226ef1b0185ff0
	s_delay_alu instid0(VALU_DEP_1) | instskip(SKIP_1) | instid1(VALU_DEP_1)
	v_pk_fma_f32 v[2:3], v[12:13], v[2:3], v[6:7] op_sel_hi:[0,1,1]
	;; [unrolled: 5-line block ×5, first 2 shown]
	v_mov_b64_e32 v[6:7], 0x3f7468303e937dbd
	v_pk_fma_f32 v[2:3], v[12:13], v[2:3], v[6:7] op_sel_hi:[0,1,1]
	v_fmaak_f32 v7, s0, v12, 0x230b0101
	s_mov_b32 s0, 0x247fb206
	v_mov_b32_e32 v6, 0x247fb206
	v_mov_b64_e32 v[20:21], s[0:1]
	s_mov_b32 s0, 0xa55706df
	s_delay_alu instid0(VALU_DEP_2) | instskip(NEXT) | instid1(VALU_DEP_2)
	v_pk_fma_f32 v[6:7], v[12:13], v[6:7], v[4:5] op_sel_hi:[0,1,1]
	v_pk_fma_f32 v[16:17], v[12:13], v[20:21], v[16:17] neg_lo:[1,0,0] neg_hi:[1,0,0]
	s_delay_alu instid0(VALU_DEP_2) | instskip(SKIP_2) | instid1(VALU_DEP_1)
	v_mov_b32_e32 v17, v7
	v_mov_b64_e32 v[6:7], 0x272dbeb228730492
	v_fmaak_f32 v5, s0, v12, 0x26a8205b
	v_fmaak_f32 v5, v12, v5, 0x28e6eb32
	s_delay_alu instid0(VALU_DEP_3) | instskip(SKIP_1) | instid1(VALU_DEP_3)
	v_pk_fma_f32 v[6:7], v[12:13], v[16:17], v[6:7] op_sel_hi:[0,1,1]
	v_mov_b64_e32 v[16:17], 0xa92235ddaa8d2834
	v_fmaak_f32 v5, v12, v5, 0xaafd3c12
	s_delay_alu instid0(VALU_DEP_2) | instskip(SKIP_1) | instid1(VALU_DEP_3)
	v_pk_fma_f32 v[6:7], v[12:13], v[6:7], v[16:17] op_sel_hi:[0,1,1]
	v_mov_b64_e32 v[16:17], 0x2ae5cdfe2c08d21c
	v_fmaak_f32 v5, v12, v5, 0x2bf86dd2
	s_delay_alu instid0(VALU_DEP_1) | instskip(NEXT) | instid1(VALU_DEP_3)
	v_fmaak_f32 v5, v12, v5, 0x2d1f1e53
	v_pk_fma_f32 v[6:7], v[12:13], v[6:7], v[16:17] op_sel_hi:[0,1,1]
	v_mov_b64_e32 v[16:17], 0xac96ecc5ad646058
	s_delay_alu instid0(VALU_DEP_3) | instskip(NEXT) | instid1(VALU_DEP_2)
	v_fmaak_f32 v5, v12, v5, 0x3009251a
	v_pk_fma_f32 v[6:7], v[12:13], v[6:7], v[16:17] op_sel_hi:[0,1,1]
	v_mov_b64_e32 v[16:17], 0x2e5fb89c2fc066fe
	s_delay_alu instid0(VALU_DEP_3) | instskip(NEXT) | instid1(VALU_DEP_1)
	v_fmaak_f32 v5, v12, v5, 0xb2b6136a
	v_fmaak_f32 v5, v12, v5, 0x34d5d550
	s_delay_alu instid0(VALU_DEP_3) | instskip(SKIP_1) | instid1(VALU_DEP_3)
	v_pk_fma_f32 v[6:7], v[12:13], v[6:7], v[16:17] op_sel_hi:[0,1,1]
	v_mov_b64_e32 v[16:17], 0xb02eaacdb214fef8
	v_fmaak_f32 v5, v12, v5, 0xb6b85841
	s_delay_alu instid0(VALU_DEP_2) | instskip(SKIP_1) | instid1(VALU_DEP_3)
	v_pk_fma_f32 v[6:7], v[12:13], v[6:7], v[16:17] op_sel_hi:[0,1,1]
	v_mov_b64_e32 v[16:17], 0x31ea7090340d11c4
	v_fmaak_f32 v5, v12, v5, 0x38a2554e
	s_delay_alu instid0(VALU_DEP_2) | instskip(SKIP_1) | instid1(VALU_DEP_1)
	v_pk_fma_f32 v[6:7], v[12:13], v[6:7], v[16:17] op_sel_hi:[0,1,1]
	v_mov_b64_e32 v[16:17], 0xb371f7b0b5b798ef
	v_pk_fma_f32 v[6:7], v[12:13], v[6:7], v[16:17] op_sel_hi:[0,1,1]
	v_mov_b64_e32 v[16:17], 0x34bfaa713748009b
	s_delay_alu instid0(VALU_DEP_1) | instskip(SKIP_1) | instid1(VALU_DEP_1)
	v_pk_fma_f32 v[6:7], v[12:13], v[6:7], v[16:17] op_sel_hi:[0,1,1]
	v_mov_b64_e32 v[16:17], 0xb6211849b91516ad
	v_pk_fma_f32 v[6:7], v[12:13], v[6:7], v[16:17] op_sel_hi:[0,1,1]
	v_mov_b64_e32 v[16:17], 0x384f453d3b8734b0
	s_delay_alu instid0(VALU_DEP_1) | instskip(SKIP_2) | instid1(VALU_DEP_1)
	v_pk_fma_f32 v[6:7], v[12:13], v[6:7], v[16:17] op_sel_hi:[0,1,1]
	v_mul_f32_e32 v17, v12, v5
	v_div_scale_f32 v5, null, v8, v8, 0x3e48f136
	v_rcp_f32_e32 v9, v5
	v_nop
	s_delay_alu instid0(TRANS32_DEP_1) | instskip(NEXT) | instid1(VALU_DEP_1)
	v_fma_f32 v13, -v5, v9, 1.0
	v_fmac_f32_e32 v9, v13, v9
	v_div_scale_f32 v13, vcc_lo, 0x3e48f136, v8, 0x3e48f136
	s_delay_alu instid0(VALU_DEP_1) | instskip(NEXT) | instid1(VALU_DEP_1)
	v_mul_f32_e32 v16, v13, v9
	v_fma_f32 v20, -v5, v16, v13
	s_delay_alu instid0(VALU_DEP_1) | instskip(NEXT) | instid1(VALU_DEP_1)
	v_fmac_f32_e32 v16, v20, v9
	v_fma_f32 v5, -v5, v16, v13
	s_delay_alu instid0(VALU_DEP_1) | instskip(NEXT) | instid1(VALU_DEP_1)
	v_div_fmas_f32 v5, v5, v9, v16
	v_div_fixup_f32 v5, v5, v8, 0x3e48f136
	s_delay_alu instid0(VALU_DEP_1) | instskip(NEXT) | instid1(VALU_DEP_1)
	v_add_f32_e32 v5, 0xbefe708c, v5
	v_div_scale_f32 v9, null, v8, v8, v5
	s_delay_alu instid0(VALU_DEP_1) | instskip(SKIP_1) | instid1(TRANS32_DEP_1)
	v_rcp_f32_e32 v13, v9
	v_nop
	v_fma_f32 v16, -v9, v13, 1.0
	s_delay_alu instid0(VALU_DEP_1) | instskip(SKIP_1) | instid1(VALU_DEP_1)
	v_fmac_f32_e32 v13, v16, v13
	v_div_scale_f32 v16, vcc_lo, v5, v8, v5
	v_mul_f32_e32 v20, v16, v13
	s_delay_alu instid0(VALU_DEP_1) | instskip(NEXT) | instid1(VALU_DEP_1)
	v_fma_f32 v21, -v9, v20, v16
	v_fmac_f32_e32 v20, v21, v13
	s_delay_alu instid0(VALU_DEP_1) | instskip(NEXT) | instid1(VALU_DEP_1)
	v_fma_f32 v9, -v9, v20, v16
	v_div_fmas_f32 v9, v9, v13, v20
	v_cmp_nlt_f32_e32 vcc_lo, 0x42ce8ed0, v8
	v_mov_b64_e32 v[20:21], 0xbac24051b87c50a3
	s_delay_alu instid0(VALU_DEP_3) | instskip(SKIP_1) | instid1(VALU_DEP_2)
	v_div_fixup_f32 v16, v9, v8, v5
	v_mul_f32_e32 v5, 0xbfb8aa3b, v8
	v_pk_add_f32 v[16:17], v[16:17], v[20:21]
	s_delay_alu instid0(VALU_DEP_2) | instskip(NEXT) | instid1(VALU_DEP_1)
	v_rndne_f32_e32 v9, v5
	v_sub_f32_e32 v13, v5, v9
	v_fma_f32 v5, 0xbfb8aa3b, v8, -v5
	v_cvt_i32_f32_e32 v9, v9
	s_delay_alu instid0(VALU_DEP_2) | instskip(NEXT) | instid1(VALU_DEP_1)
	v_fmamk_f32 v5, v8, 0xb2a5705f, v5
	v_add_f32_e32 v5, v13, v5
	s_delay_alu instid0(VALU_DEP_1) | instskip(SKIP_1) | instid1(TRANS32_DEP_1)
	v_exp_f32_e32 v5, v5
	v_nop
	v_ldexp_f32 v5, v5, v9
	s_delay_alu instid0(VALU_DEP_1) | instskip(SKIP_1) | instid1(VALU_DEP_2)
	v_dual_mov_b32 v9, v12 :: v_dual_cndmask_b32 v5, 0, v5, vcc_lo
	v_cmp_ngt_f32_e32 vcc_lo, 0xc2b17218, v8
	v_cndmask_b32_e32 v8, 0x7f800000, v5, vcc_lo
	v_mov_b32_e32 v5, 0x3d4be9ee
	s_delay_alu instid0(VALU_DEP_1) | instskip(NEXT) | instid1(VALU_DEP_1)
	v_pk_fma_f32 v[4:5], v[8:9], v[16:17], v[4:5]
                                        ; implicit-def: $vgpr8
	v_sub_f32_e32 v4, v4, v5
	s_delay_alu instid0(VALU_DEP_1) | instskip(NEXT) | instid1(VALU_DEP_1)
	v_sub_f32_e32 v4, v4, v6
	v_sub_f32_e32 v4, v4, v7
.LBB0_60:
	s_and_not1_saveexec_b32 s11, s1
	s_cbranch_execz .LBB0_74
; %bb.61:
                                        ; implicit-def: $vgpr5
                                        ; implicit-def: $vgpr2_vgpr3
	s_mov_b32 s0, exec_lo
	v_cmpx_ge_f32_e32 0x420c0000, v8
	s_xor_b32 s1, exec_lo, s0
	s_cbranch_execz .LBB0_67
; %bb.62:
	s_mov_b32 s0, exec_lo
                                        ; implicit-def: $vgpr7
	v_cmpx_ge_f32_e32 0x41c80000, v8
	s_xor_b32 s0, exec_lo, s0
	s_cbranch_execz .LBB0_64
; %bb.63:
	v_div_scale_f32 v0, null, v8, v8, 0x4681b030
	s_mov_b32 s2, 0x347b012a
	v_rcp_f32_e32 v1, v0
	v_nop
	s_delay_alu instid0(TRANS32_DEP_1) | instskip(NEXT) | instid1(VALU_DEP_1)
	v_fma_f32 v2, -v0, v1, 1.0
	v_fmac_f32_e32 v1, v2, v1
	v_div_scale_f32 v2, vcc_lo, 0x4681b030, v8, 0x4681b030
	s_delay_alu instid0(VALU_DEP_1) | instskip(NEXT) | instid1(VALU_DEP_1)
	v_dual_fmaak_f32 v3, s2, v8, 0xb82007dc :: v_dual_mul_f32 v4, v2, v1
	v_fma_f32 v5, -v0, v4, v2
	s_delay_alu instid0(VALU_DEP_1) | instskip(NEXT) | instid1(VALU_DEP_1)
	v_dual_fmaak_f32 v3, v8, v3, 0x3b664dec :: v_dual_fmac_f32 v4, v5, v1
	v_fma_f32 v0, -v0, v4, v2
	s_delay_alu instid0(VALU_DEP_1) | instskip(NEXT) | instid1(VALU_DEP_1)
	v_div_fmas_f32 v0, v0, v1, v4
	v_div_fixup_f32 v0, v0, v8, 0x4681b030
	s_delay_alu instid0(VALU_DEP_4) | instskip(NEXT) | instid1(VALU_DEP_1)
	v_fmaak_f32 v3, v8, v3, 0xbe2a8916
	v_fmaak_f32 v3, v8, v3, 0x40999a1a
	s_delay_alu instid0(VALU_DEP_1) | instskip(NEXT) | instid1(VALU_DEP_1)
	v_fmaak_f32 v2, v8, v3, 0xc2aea219
	v_fmaak_f32 v1, v8, v2, 0x44746bc1
	s_delay_alu instid0(VALU_DEP_1) | instskip(NEXT) | instid1(VALU_DEP_1)
	v_fmac_f32_e32 v0, v8, v1
	v_add_f32_e32 v7, 0xc5c00653, v0
.LBB0_64:
	s_and_not1_saveexec_b32 s0, s0
; %bb.65:
	s_mov_b32 s2, 0x36c0af5a
	s_delay_alu instid0(SALU_CYCLE_1) | instskip(NEXT) | instid1(VALU_DEP_1)
	v_fmaak_f32 v0, s2, v8, 0xb89f1e53
	v_fmaak_f32 v0, v8, v0, 0x39767de4
	s_delay_alu instid0(VALU_DEP_1) | instskip(NEXT) | instid1(VALU_DEP_1)
	v_fmaak_f32 v0, v8, v0, 0xbb784221
	v_fmaak_f32 v0, v8, v0, 0x3e9ea77f
	s_delay_alu instid0(VALU_DEP_1) | instskip(NEXT) | instid1(VALU_DEP_1)
	v_fmaak_f32 v0, v8, v0, 0xc0e38e05
	v_fmaak_f32 v7, v8, v0, 0x425e1e79
; %bb.66:
	s_or_b32 exec_lo, exec_lo, s0
	v_div_scale_f32 v0, null, v8, v8, 0x3f490fdb
	v_mov_b32_e32 v6, 0xbe72a452
	v_mov_b32_e32 v5, 0x40cb68be
	v_mov_b64_e32 v[98:99], 0xcb7baf74cd2479c9
	s_delay_alu instid0(VALU_DEP_4) | instskip(SKIP_1) | instid1(TRANS32_DEP_1)
	v_rcp_f32_e32 v1, v0
	v_nop
	v_fma_f32 v2, -v0, v1, 1.0
	s_delay_alu instid0(VALU_DEP_1) | instskip(SKIP_1) | instid1(VALU_DEP_1)
	v_fmac_f32_e32 v1, v2, v1
	v_div_scale_f32 v2, vcc_lo, 0x3f490fdb, v8, 0x3f490fdb
	v_mul_f32_e32 v3, v2, v1
	s_delay_alu instid0(VALU_DEP_1) | instskip(NEXT) | instid1(VALU_DEP_1)
	v_fma_f32 v4, -v0, v3, v2
	v_fmac_f32_e32 v3, v4, v1
	s_delay_alu instid0(VALU_DEP_1) | instskip(NEXT) | instid1(VALU_DEP_1)
	v_fma_f32 v0, -v0, v3, v2
	v_div_fmas_f32 v0, v0, v1, v3
	s_delay_alu instid0(VALU_DEP_1) | instskip(NEXT) | instid1(VALU_DEP_1)
	v_div_fixup_f32 v0, v0, v8, 0x3f490fdb
	v_cmp_gt_f32_e32 vcc_lo, 0xf800000, v0
	v_mul_f32_e32 v1, 0x4f800000, v0
	s_delay_alu instid0(VALU_DEP_1) | instskip(NEXT) | instid1(VALU_DEP_1)
	v_cndmask_b32_e32 v0, v0, v1, vcc_lo
	v_sqrt_f32_e32 v1, v0
	v_nop
	s_delay_alu instid0(TRANS32_DEP_1) | instskip(NEXT) | instid1(VALU_DEP_1)
	v_add_nc_u32_e32 v2, -1, v1
	v_fma_f32 v3, -v2, v1, v0
	s_delay_alu instid0(VALU_DEP_1) | instskip(NEXT) | instid1(VALU_DEP_1)
	v_cmp_ge_f32_e64 s0, 0, v3
	v_dual_add_nc_u32 v3, 1, v1 :: v_dual_cndmask_b32 v2, v1, v2, s0
	s_delay_alu instid0(VALU_DEP_1) | instskip(NEXT) | instid1(VALU_DEP_1)
	v_fma_f32 v1, -v3, v1, v0
	v_cmp_lt_f32_e64 s0, 0, v1
	s_delay_alu instid0(VALU_DEP_1) | instskip(SKIP_2) | instid1(VALU_DEP_2)
	v_cndmask_b32_e64 v1, v2, v3, s0
	s_mov_b32 s0, 0xb83af1e6
	v_mov_b32_e32 v3, 0x3da0e4fa
	v_mul_f32_e32 v2, 0x37800000, v1
	s_delay_alu instid0(VALU_DEP_1) | instskip(SKIP_1) | instid1(VALU_DEP_2)
	v_cndmask_b32_e32 v1, v1, v2, vcc_lo
	v_cmp_class_f32_e64 vcc_lo, v0, 0x260
	v_cndmask_b32_e32 v4, v1, v0, vcc_lo
	v_mul_f32_e32 v0, 0xbfb8aa3b, v8
	v_cmp_nlt_f32_e32 vcc_lo, 0x42ce8ed0, v8
	s_delay_alu instid0(VALU_DEP_2) | instskip(NEXT) | instid1(VALU_DEP_1)
	v_rndne_f32_e32 v1, v0
	v_sub_f32_e32 v2, v0, v1
	v_fma_f32 v0, 0xbfb8aa3b, v8, -v0
	v_cvt_i32_f32_e32 v1, v1
	s_delay_alu instid0(VALU_DEP_2) | instskip(NEXT) | instid1(VALU_DEP_1)
	v_fmamk_f32 v0, v8, 0xb2a5705f, v0
	v_add_f32_e32 v0, v2, v0
	v_fmaak_f32 v2, s0, v8, 0x3aa6cffa
	s_mov_b32 s0, 0xba1d77bb
	s_delay_alu instid0(VALU_DEP_2) | instskip(NEXT) | instid1(VALU_DEP_1)
	v_exp_f32_e32 v0, v0
	v_pk_fma_f32 v[16:17], v[8:9], v[2:3], v[6:7]
	v_pk_fma_f32 v[2:3], v[8:9], v[2:3], v[4:5] op_sel_hi:[0,1,1] neg_lo:[1,0,0] neg_hi:[1,0,0]
	v_div_scale_f32 v2, null, v8, v8, 0xce7434c4
	s_delay_alu instid0(VALU_DEP_2) | instskip(NEXT) | instid1(VALU_DEP_2)
	v_mov_b32_e32 v17, v3
	v_rcp_f32_e32 v3, v2
	s_delay_alu instid0(TRANS32_DEP_2) | instskip(NEXT) | instid1(VALU_DEP_1)
	v_ldexp_f32 v0, v0, v1
	v_cndmask_b32_e32 v0, 0, v0, vcc_lo
	v_cmp_ngt_f32_e32 vcc_lo, 0xc2b17218, v8
	s_delay_alu instid0(TRANS32_DEP_1) | instskip(NEXT) | instid1(VALU_DEP_1)
	v_fma_f32 v5, -v2, v3, 1.0
	v_dual_cndmask_b32 v12, 0x7f800000, v0 :: v_dual_fmac_f32 v3, v5, v3
	v_div_scale_f32 v5, vcc_lo, 0xce7434c4, v8, 0xce7434c4
	v_mov_b64_e32 v[0:1], 0xbfab678abe14ca72
	s_delay_alu instid0(VALU_DEP_2) | instskip(NEXT) | instid1(VALU_DEP_2)
	v_mul_f32_e32 v6, v5, v3
	v_pk_add_f32 v[0:1], v[8:9], v[0:1] op_sel_hi:[0,1]
	s_delay_alu instid0(VALU_DEP_2) | instskip(NEXT) | instid1(VALU_DEP_1)
	v_fma_f32 v9, -v2, v6, v5
	v_fmac_f32_e32 v6, v9, v3
	s_delay_alu instid0(VALU_DEP_1) | instskip(NEXT) | instid1(VALU_DEP_1)
	v_fma_f32 v2, -v2, v6, v5
	v_div_fmas_f32 v2, v2, v3, v6
	s_delay_alu instid0(VALU_DEP_1) | instskip(NEXT) | instid1(VALU_DEP_1)
	v_div_fixup_f32 v2, v2, v8, 0xce7434c4
	v_add_f32_e32 v5, 0x4db07acc, v2
	v_mov_b64_e32 v[2:3], 0xc3a926024176edd6
	s_delay_alu instid0(VALU_DEP_2) | instskip(NEXT) | instid1(VALU_DEP_2)
	v_div_scale_f32 v6, null, v8, v8, v5
	v_pk_fma_f32 v[2:3], v[8:9], v[16:17], v[2:3] op_sel_hi:[0,1,1]
	v_mov_b64_e32 v[16:17], 0x46438033c402b325
	s_delay_alu instid0(VALU_DEP_1) | instskip(SKIP_1) | instid1(VALU_DEP_1)
	v_pk_fma_f32 v[2:3], v[8:9], v[2:3], v[16:17] op_sel_hi:[0,1,1]
	v_mov_b64_e32 v[16:17], 0xc89ab5f246258c7d
	v_pk_fma_f32 v[2:3], v[8:9], v[2:3], v[16:17] op_sel_hi:[0,1,1]
	v_rcp_f32_e32 v9, v6
	v_nop
	s_delay_alu instid0(TRANS32_DEP_1) | instskip(NEXT) | instid1(VALU_DEP_1)
	v_fma_f32 v13, -v6, v9, 1.0
	v_fmac_f32_e32 v9, v13, v9
	v_div_scale_f32 v13, vcc_lo, v5, v8, v5
	s_delay_alu instid0(VALU_DEP_1) | instskip(NEXT) | instid1(VALU_DEP_1)
	v_mul_f32_e32 v16, v13, v9
	v_fma_f32 v17, -v6, v16, v13
	s_delay_alu instid0(VALU_DEP_1) | instskip(NEXT) | instid1(VALU_DEP_1)
	v_fmac_f32_e32 v16, v17, v9
	v_fma_f32 v6, -v6, v16, v13
	s_delay_alu instid0(VALU_DEP_1) | instskip(NEXT) | instid1(VALU_DEP_1)
	v_div_fmas_f32 v6, v6, v9, v16
	v_div_fixup_f32 v17, v6, v8, v5
	v_div_scale_f32 v5, null, v8, v8, 0x4a194e71
	s_delay_alu instid0(VALU_DEP_1) | instskip(SKIP_1) | instid1(TRANS32_DEP_1)
	v_rcp_f32_e32 v6, v5
	v_nop
	v_fma_f32 v9, -v5, v6, 1.0
	s_delay_alu instid0(VALU_DEP_1) | instskip(SKIP_1) | instid1(VALU_DEP_1)
	v_fmac_f32_e32 v6, v9, v6
	v_div_scale_f32 v9, vcc_lo, 0x4a194e71, v8, 0x4a194e71
	v_mul_f32_e32 v13, v9, v6
	s_delay_alu instid0(VALU_DEP_1) | instskip(NEXT) | instid1(VALU_DEP_1)
	v_fma_f32 v16, -v5, v13, v9
	v_fmac_f32_e32 v13, v16, v6
	s_delay_alu instid0(VALU_DEP_1) | instskip(NEXT) | instid1(VALU_DEP_1)
	v_fma_f32 v5, -v5, v13, v9
	v_div_fmas_f32 v5, v5, v6, v13
	v_mov_b32_e32 v6, 0x495520f6
	s_delay_alu instid0(VALU_DEP_2) | instskip(SKIP_1) | instid1(VALU_DEP_2)
	v_div_fixup_f32 v16, v5, v8, 0x4a194e71
	v_mov_b32_e32 v5, 0xcc5ff7d7
	v_pk_add_f32 v[20:21], v[16:17], v[6:7] neg_lo:[1,0] neg_hi:[1,0]
	s_delay_alu instid0(VALU_DEP_2) | instskip(NEXT) | instid1(VALU_DEP_1)
	v_pk_add_f32 v[16:17], v[16:17], v[4:5]
	v_div_scale_f32 v5, null, v8, v8, v17
	s_delay_alu instid0(VALU_DEP_1) | instskip(SKIP_1) | instid1(TRANS32_DEP_1)
	v_rcp_f32_e32 v6, v5
	v_nop
	v_fma_f32 v9, -v5, v6, 1.0
	s_delay_alu instid0(VALU_DEP_1) | instskip(SKIP_1) | instid1(VALU_DEP_1)
	v_fmac_f32_e32 v6, v9, v6
	v_div_scale_f32 v9, vcc_lo, v17, v8, v17
	v_mul_f32_e32 v13, v9, v6
	s_delay_alu instid0(VALU_DEP_1) | instskip(NEXT) | instid1(VALU_DEP_1)
	v_fma_f32 v16, -v5, v13, v9
	v_fmac_f32_e32 v13, v16, v6
	s_delay_alu instid0(VALU_DEP_1) | instskip(NEXT) | instid1(VALU_DEP_1)
	v_fma_f32 v5, -v5, v13, v9
	v_div_fmas_f32 v5, v5, v6, v13
	s_delay_alu instid0(VALU_DEP_1) | instskip(SKIP_1) | instid1(VALU_DEP_1)
	v_div_fixup_f32 v17, v5, v8, v17
	v_div_scale_f32 v5, null, v8, v8, v20
	v_rcp_f32_e32 v6, v5
	v_nop
	s_delay_alu instid0(TRANS32_DEP_1) | instskip(NEXT) | instid1(VALU_DEP_1)
	v_fma_f32 v9, -v5, v6, 1.0
	v_fmac_f32_e32 v6, v9, v6
	v_div_scale_f32 v9, vcc_lo, v20, v8, v20
	s_delay_alu instid0(VALU_DEP_1) | instskip(NEXT) | instid1(VALU_DEP_1)
	v_mul_f32_e32 v13, v9, v6
	v_fma_f32 v16, -v5, v13, v9
	s_delay_alu instid0(VALU_DEP_1) | instskip(NEXT) | instid1(VALU_DEP_1)
	v_fmac_f32_e32 v13, v16, v6
	v_fma_f32 v5, -v5, v13, v9
	s_delay_alu instid0(VALU_DEP_1) | instskip(NEXT) | instid1(VALU_DEP_1)
	v_div_fmas_f32 v5, v5, v6, v13
	v_div_fixup_f32 v16, v5, v8, v20
	v_div_scale_f32 v5, null, v1, v1, 0x3fab678a
	s_delay_alu instid0(VALU_DEP_2) | instskip(NEXT) | instid1(VALU_DEP_2)
	v_pk_fma_f32 v[2:3], v[8:9], v[2:3], v[16:17] op_sel_hi:[0,1,1]
	v_rcp_f32_e32 v6, v5
	v_mov_b64_e32 v[16:17], 0x4aa45f3cc7fc5531
	s_delay_alu instid0(TRANS32_DEP_1) | instskip(NEXT) | instid1(VALU_DEP_2)
	v_fma_f32 v9, -v5, v6, 1.0
	v_pk_add_f32 v[2:3], v[2:3], v[16:17]
	v_fmaak_f32 v17, s0, v8, 0xbeba9d10
	s_mov_b32 s0, 0x3e739c2f
	s_delay_alu instid0(VALU_DEP_3) | instskip(SKIP_3) | instid1(VALU_DEP_2)
	v_fmac_f32_e32 v6, v9, v6
	v_div_scale_f32 v9, vcc_lo, 0x3fab678a, v1, 0x3fab678a
	v_mov_b64_e32 v[20:21], s[0:1]
	s_mov_b32 s0, 0x3977e039
	v_mul_f32_e32 v13, v9, v6
	s_delay_alu instid0(VALU_DEP_1) | instskip(NEXT) | instid1(VALU_DEP_1)
	v_fma_f32 v16, -v5, v13, v9
	v_fmac_f32_e32 v13, v16, v6
	s_delay_alu instid0(VALU_DEP_1) | instskip(NEXT) | instid1(VALU_DEP_1)
	v_fma_f32 v5, -v5, v13, v9
	v_div_fmas_f32 v5, v5, v6, v13
	s_delay_alu instid0(VALU_DEP_1) | instskip(SKIP_1) | instid1(VALU_DEP_1)
	v_div_fixup_f32 v1, v5, v1, 0x3fab678a
	v_div_scale_f32 v5, null, v0, v0, 0x3e14ca72
	v_rcp_f32_e32 v6, v5
	v_nop
	s_delay_alu instid0(TRANS32_DEP_1) | instskip(NEXT) | instid1(VALU_DEP_1)
	v_fma_f32 v9, -v5, v6, 1.0
	v_fmac_f32_e32 v6, v9, v6
	v_div_scale_f32 v9, vcc_lo, 0x3e14ca72, v0, 0x3e14ca72
	s_delay_alu instid0(VALU_DEP_1) | instskip(NEXT) | instid1(VALU_DEP_1)
	v_mul_f32_e32 v13, v9, v6
	v_fma_f32 v16, -v5, v13, v9
	s_delay_alu instid0(VALU_DEP_1) | instskip(NEXT) | instid1(VALU_DEP_1)
	v_dual_fmac_f32 v13, v16, v6 :: v_dual_mov_b32 v16, 0x3e739c2f
	v_fma_f32 v5, -v5, v13, v9
	s_delay_alu instid0(VALU_DEP_1) | instskip(NEXT) | instid1(VALU_DEP_1)
	v_div_fmas_f32 v5, v5, v6, v13
	v_div_fixup_f32 v0, v5, v0, 0x3e14ca72
	s_delay_alu instid0(VALU_DEP_1) | instskip(SKIP_1) | instid1(VALU_DEP_1)
	v_pk_fma_f32 v[0:1], v[12:13], v[2:3], v[0:1] op_sel_hi:[0,1,1]
	v_div_scale_f32 v2, null, v8, v8, 0xcf2bbe86
	v_rcp_f32_e32 v3, v2
	v_nop
	s_delay_alu instid0(TRANS32_DEP_1) | instskip(NEXT) | instid1(VALU_DEP_1)
	v_fma_f32 v5, -v2, v3, 1.0
	v_fmac_f32_e32 v3, v5, v3
	v_div_scale_f32 v5, vcc_lo, 0xcf2bbe86, v8, 0xcf2bbe86
	s_delay_alu instid0(VALU_DEP_1) | instskip(NEXT) | instid1(VALU_DEP_1)
	v_mul_f32_e32 v6, v5, v3
	v_fma_f32 v9, -v2, v6, v5
	s_delay_alu instid0(VALU_DEP_1) | instskip(NEXT) | instid1(VALU_DEP_1)
	v_fmac_f32_e32 v6, v9, v3
	v_fma_f32 v2, -v2, v6, v5
	v_mov_b32_e32 v5, 0x417bfe6a
	s_delay_alu instid0(VALU_DEP_2) | instskip(SKIP_1) | instid1(VALU_DEP_2)
	v_div_fmas_f32 v2, v2, v3, v6
	v_mov_b32_e32 v6, 0x41934c39
	v_div_fixup_f32 v2, v2, v8, 0xcf2bbe86
	s_delay_alu instid0(VALU_DEP_1) | instskip(SKIP_1) | instid1(VALU_DEP_2)
	v_add_f32_e32 v9, 0x4e7e374b, v2
	v_mov_b64_e32 v[2:3], 0xc1096b0dc07b535f
	v_pk_fma_f32 v[16:17], v[8:9], v[16:17], v[4:5] op_sel_hi:[0,1,1]
	v_pk_fma_f32 v[20:21], v[8:9], v[20:21], v[6:7] neg_lo:[1,0,0] neg_hi:[1,0,0]
	v_div_scale_f32 v5, null, v8, v8, v9
	s_delay_alu instid0(VALU_DEP_4) | instskip(NEXT) | instid1(VALU_DEP_4)
	v_pk_add_f32 v[2:3], v[8:9], v[2:3] op_sel_hi:[0,1]
	v_mov_b32_e32 v21, v17
	v_mov_b64_e32 v[16:17], 0xc423bc6fc47a8078
	s_delay_alu instid0(VALU_DEP_4) | instskip(NEXT) | instid1(VALU_DEP_1)
	v_rcp_f32_e32 v6, v5
	v_pk_fma_f32 v[16:17], v[8:9], v[20:21], v[16:17] op_sel_hi:[0,1,1]
	v_mov_b64_e32 v[20:21], 0x4685760247128b2f
	s_delay_alu instid0(TRANS32_DEP_1) | instskip(NEXT) | instid1(VALU_DEP_1)
	v_fma_f32 v13, -v5, v6, 1.0
	v_fmac_f32_e32 v6, v13, v6
	s_delay_alu instid0(VALU_DEP_3) | instskip(SKIP_2) | instid1(VALU_DEP_2)
	v_pk_fma_f32 v[16:17], v[8:9], v[16:17], v[20:21] op_sel_hi:[0,1,1]
	v_mov_b64_e32 v[20:21], 0xc88ddabec968162b
	v_div_scale_f32 v13, vcc_lo, v9, v8, v9
	v_pk_fma_f32 v[16:17], v[8:9], v[16:17], v[20:21] op_sel_hi:[0,1,1]
	s_delay_alu instid0(VALU_DEP_2) | instskip(NEXT) | instid1(VALU_DEP_1)
	v_mul_f32_e32 v20, v13, v6
	v_fma_f32 v21, -v5, v20, v13
	s_delay_alu instid0(VALU_DEP_1) | instskip(NEXT) | instid1(VALU_DEP_1)
	v_fmac_f32_e32 v20, v21, v6
	v_fma_f32 v5, -v5, v20, v13
	s_delay_alu instid0(VALU_DEP_1) | instskip(NEXT) | instid1(VALU_DEP_1)
	v_div_fmas_f32 v5, v5, v6, v20
	v_div_fixup_f32 v20, v5, v8, v9
	v_div_scale_f32 v5, null, v8, v8, 0x4c0527dc
	s_delay_alu instid0(VALU_DEP_1) | instskip(SKIP_1) | instid1(TRANS32_DEP_1)
	v_rcp_f32_e32 v6, v5
	v_nop
	v_fma_f32 v9, -v5, v6, 1.0
	s_delay_alu instid0(VALU_DEP_1) | instskip(SKIP_1) | instid1(VALU_DEP_1)
	v_fmac_f32_e32 v6, v9, v6
	v_div_scale_f32 v9, vcc_lo, 0x4c0527dc, v8, 0x4c0527dc
	v_mul_f32_e32 v13, v9, v6
	s_delay_alu instid0(VALU_DEP_1) | instskip(NEXT) | instid1(VALU_DEP_1)
	v_fma_f32 v21, -v5, v13, v9
	v_fmac_f32_e32 v13, v21, v6
	s_delay_alu instid0(VALU_DEP_1) | instskip(NEXT) | instid1(VALU_DEP_1)
	v_fma_f32 v5, -v5, v13, v9
	v_div_fmas_f32 v5, v5, v6, v13
	s_delay_alu instid0(VALU_DEP_1) | instskip(NEXT) | instid1(VALU_DEP_1)
	v_div_fixup_f32 v21, v5, v8, 0x4c0527dc
	v_pk_add_f32 v[20:21], v[20:21], v[98:99]
	s_delay_alu instid0(VALU_DEP_1) | instskip(NEXT) | instid1(VALU_DEP_1)
	v_div_scale_f32 v5, null, v8, v8, v21
	v_rcp_f32_e32 v6, v5
	v_nop
	s_delay_alu instid0(TRANS32_DEP_1) | instskip(NEXT) | instid1(VALU_DEP_1)
	v_fma_f32 v9, -v5, v6, 1.0
	v_fmac_f32_e32 v6, v9, v6
	v_div_scale_f32 v9, vcc_lo, v21, v8, v21
	s_delay_alu instid0(VALU_DEP_1) | instskip(NEXT) | instid1(VALU_DEP_1)
	v_mul_f32_e32 v13, v9, v6
	v_fma_f32 v97, -v5, v13, v9
	s_delay_alu instid0(VALU_DEP_1) | instskip(NEXT) | instid1(VALU_DEP_1)
	v_fmac_f32_e32 v13, v97, v6
	v_fma_f32 v5, -v5, v13, v9
	s_delay_alu instid0(VALU_DEP_1) | instskip(NEXT) | instid1(VALU_DEP_1)
	v_div_fmas_f32 v5, v5, v6, v13
	v_div_fixup_f32 v21, v5, v8, v21
	v_div_scale_f32 v5, null, v8, v8, v20
	s_delay_alu instid0(VALU_DEP_1) | instskip(SKIP_1) | instid1(TRANS32_DEP_1)
	v_rcp_f32_e32 v6, v5
	v_nop
	v_fma_f32 v9, -v5, v6, 1.0
	s_delay_alu instid0(VALU_DEP_1) | instskip(SKIP_1) | instid1(VALU_DEP_1)
	v_fmac_f32_e32 v6, v9, v6
	v_div_scale_f32 v9, vcc_lo, v20, v8, v20
	v_mul_f32_e32 v13, v9, v6
	s_delay_alu instid0(VALU_DEP_1) | instskip(NEXT) | instid1(VALU_DEP_1)
	v_fma_f32 v97, -v5, v13, v9
	v_fmac_f32_e32 v13, v97, v6
	s_delay_alu instid0(VALU_DEP_1) | instskip(NEXT) | instid1(VALU_DEP_1)
	v_fma_f32 v5, -v5, v13, v9
	v_div_fmas_f32 v5, v5, v6, v13
	s_delay_alu instid0(VALU_DEP_1) | instskip(SKIP_1) | instid1(VALU_DEP_2)
	v_div_fixup_f32 v20, v5, v8, v20
	v_div_scale_f32 v5, null, v3, v3, 0x41096b0d
	v_pk_fma_f32 v[16:17], v[8:9], v[16:17], v[20:21] op_sel_hi:[0,1,1]
	s_delay_alu instid0(VALU_DEP_2) | instskip(SKIP_1) | instid1(TRANS32_DEP_1)
	v_rcp_f32_e32 v6, v5
	v_mov_b64_e32 v[20:21], 0x4a3529ce4b74c7d3
	v_fma_f32 v9, -v5, v6, 1.0
	s_delay_alu instid0(VALU_DEP_2) | instskip(NEXT) | instid1(VALU_DEP_2)
	v_pk_add_f32 v[16:17], v[16:17], v[20:21]
	v_fmac_f32_e32 v6, v9, v6
	v_div_scale_f32 v9, vcc_lo, 0x41096b0d, v3, 0x41096b0d
	s_delay_alu instid0(VALU_DEP_1) | instskip(NEXT) | instid1(VALU_DEP_1)
	v_mul_f32_e32 v13, v9, v6
	v_fma_f32 v20, -v5, v13, v9
	s_delay_alu instid0(VALU_DEP_1) | instskip(NEXT) | instid1(VALU_DEP_1)
	v_fmac_f32_e32 v13, v20, v6
	v_fma_f32 v5, -v5, v13, v9
	s_delay_alu instid0(VALU_DEP_1) | instskip(NEXT) | instid1(VALU_DEP_1)
	v_div_fmas_f32 v5, v5, v6, v13
	v_div_fixup_f32 v3, v5, v3, 0x41096b0d
	v_div_scale_f32 v5, null, v2, v2, 0x407b535f
	s_delay_alu instid0(VALU_DEP_1) | instskip(SKIP_1) | instid1(TRANS32_DEP_1)
	v_rcp_f32_e32 v6, v5
	v_nop
	v_fma_f32 v9, -v5, v6, 1.0
	s_delay_alu instid0(VALU_DEP_1) | instskip(SKIP_1) | instid1(VALU_DEP_1)
	v_fmac_f32_e32 v6, v9, v6
	v_div_scale_f32 v9, vcc_lo, 0x407b535f, v2, 0x407b535f
	v_mul_f32_e32 v13, v9, v6
	s_delay_alu instid0(VALU_DEP_1) | instskip(NEXT) | instid1(VALU_DEP_1)
	v_fma_f32 v20, -v5, v13, v9
	v_fmac_f32_e32 v13, v20, v6
	s_delay_alu instid0(VALU_DEP_1) | instskip(NEXT) | instid1(VALU_DEP_1)
	v_fma_f32 v5, -v5, v13, v9
	v_div_fmas_f32 v5, v5, v6, v13
	v_div_scale_f32 v6, null, v8, v8, 0x4c46ea5e
	s_delay_alu instid0(VALU_DEP_2) | instskip(NEXT) | instid1(VALU_DEP_2)
	v_div_fixup_f32 v2, v5, v2, 0x407b535f
	v_rcp_f32_e32 v9, v6
	v_fmaak_f32 v5, s0, v8, 0xbc1634c4
	s_mov_b32 s0, 0x3a3f52db
	s_delay_alu instid0(VALU_DEP_2) | instskip(NEXT) | instid1(VALU_DEP_2)
	v_pk_fma_f32 v[2:3], v[12:13], v[16:17], v[2:3] op_sel_hi:[0,1,1]
	v_fmaak_f32 v5, v8, v5, 0x3eeca3b6
	s_delay_alu instid0(TRANS32_DEP_1) | instskip(NEXT) | instid1(VALU_DEP_2)
	v_fma_f32 v13, -v6, v9, 1.0
	v_fmaak_f32 v5, v8, v5, 0xc19d8e16
	s_delay_alu instid0(VALU_DEP_2) | instskip(SKIP_1) | instid1(VALU_DEP_3)
	v_fmac_f32_e32 v9, v13, v9
	v_div_scale_f32 v13, vcc_lo, 0x4c46ea5e, v8, 0x4c46ea5e
	v_fmaak_f32 v5, v8, v5, 0x43f995a8
	s_delay_alu instid0(VALU_DEP_2) | instskip(NEXT) | instid1(VALU_DEP_2)
	v_mul_f32_e32 v16, v13, v9
	v_fmaak_f32 v5, v8, v5, 0xc5c23196
	s_delay_alu instid0(VALU_DEP_2) | instskip(NEXT) | instid1(VALU_DEP_1)
	v_fma_f32 v17, -v6, v16, v13
	v_fmac_f32_e32 v16, v17, v9
	s_delay_alu instid0(VALU_DEP_1) | instskip(NEXT) | instid1(VALU_DEP_1)
	v_fma_f32 v6, -v6, v16, v13
	v_div_fmas_f32 v6, v6, v9, v16
	s_delay_alu instid0(VALU_DEP_1) | instskip(NEXT) | instid1(VALU_DEP_1)
	v_div_fixup_f32 v6, v6, v8, 0x4c46ea5e
	v_add_f32_e32 v6, 0xcb4ca412, v6
	s_delay_alu instid0(VALU_DEP_1) | instskip(NEXT) | instid1(VALU_DEP_1)
	v_div_scale_f32 v9, null, v8, v8, v6
	v_rcp_f32_e32 v13, v9
	v_nop
	s_delay_alu instid0(TRANS32_DEP_1) | instskip(NEXT) | instid1(VALU_DEP_1)
	v_fma_f32 v16, -v9, v13, 1.0
	v_fmac_f32_e32 v13, v16, v13
	v_div_scale_f32 v16, vcc_lo, v6, v8, v6
	s_delay_alu instid0(VALU_DEP_1) | instskip(NEXT) | instid1(VALU_DEP_1)
	v_mul_f32_e32 v17, v16, v13
	v_fma_f32 v20, -v9, v17, v16
	s_delay_alu instid0(VALU_DEP_1) | instskip(NEXT) | instid1(VALU_DEP_1)
	v_fmac_f32_e32 v17, v20, v13
	v_fma_f32 v9, -v9, v17, v16
	s_delay_alu instid0(VALU_DEP_1) | instskip(NEXT) | instid1(VALU_DEP_1)
	v_div_fmas_f32 v9, v9, v13, v17
	v_div_fixup_f32 v6, v9, v8, v6
	s_delay_alu instid0(VALU_DEP_1) | instskip(NEXT) | instid1(VALU_DEP_1)
	v_add_f32_e32 v6, 0x498ac2e8, v6
	v_div_scale_f32 v9, null, v8, v8, v6
	s_delay_alu instid0(VALU_DEP_1) | instskip(SKIP_1) | instid1(TRANS32_DEP_1)
	v_rcp_f32_e32 v13, v9
	v_nop
	v_fma_f32 v16, -v9, v13, 1.0
	s_delay_alu instid0(VALU_DEP_1) | instskip(SKIP_1) | instid1(VALU_DEP_1)
	v_fmac_f32_e32 v13, v16, v13
	v_div_scale_f32 v16, vcc_lo, v6, v8, v6
	v_mul_f32_e32 v17, v16, v13
	s_delay_alu instid0(VALU_DEP_1) | instskip(NEXT) | instid1(VALU_DEP_1)
	v_fma_f32 v20, -v9, v17, v16
	v_fmac_f32_e32 v17, v20, v13
	s_delay_alu instid0(VALU_DEP_1) | instskip(NEXT) | instid1(VALU_DEP_1)
	v_fma_f32 v9, -v9, v17, v16
	v_div_fmas_f32 v9, v9, v13, v17
	v_mov_b64_e32 v[16:17], 0x396c2b783c9ddd0b
	s_delay_alu instid0(VALU_DEP_2) | instskip(SKIP_1) | instid1(VALU_DEP_2)
	v_div_fixup_f32 v6, v9, v8, v6
	v_div_scale_f32 v9, null, v8, v8, 0x4b6c15fd
	v_fmac_f32_e32 v6, v8, v5
	s_delay_alu instid0(VALU_DEP_1) | instskip(NEXT) | instid1(VALU_DEP_1)
	v_add_f32_e32 v6, 0xc52ff030, v6
	v_pk_mul_f32 v[6:7], v[12:13], v[6:7] op_sel_hi:[0,1]
	s_delay_alu instid0(VALU_DEP_4) | instskip(NEXT) | instid1(VALU_DEP_1)
	v_rcp_f32_e32 v13, v9
	v_pk_fma_f32 v[6:7], v[4:5], v[16:17], v[6:7] op_sel_hi:[0,1,1]
	v_fmaak_f32 v5, s0, v8, 0xbd10f50f
	s_delay_alu instid0(TRANS32_DEP_1) | instskip(NEXT) | instid1(VALU_DEP_1)
	v_fma_f32 v16, -v9, v13, 1.0
	v_fmac_f32_e32 v13, v16, v13
	v_div_scale_f32 v16, vcc_lo, 0x4b6c15fd, v8, 0x4b6c15fd
	s_delay_alu instid0(VALU_DEP_1) | instskip(NEXT) | instid1(VALU_DEP_1)
	v_mul_f32_e32 v17, v16, v13
	v_fma_f32 v20, -v9, v17, v16
	s_delay_alu instid0(VALU_DEP_1) | instskip(NEXT) | instid1(VALU_DEP_1)
	v_fmac_f32_e32 v17, v20, v13
	v_fma_f32 v9, -v9, v17, v16
	s_delay_alu instid0(VALU_DEP_1) | instskip(NEXT) | instid1(VALU_DEP_1)
	v_div_fmas_f32 v9, v9, v13, v17
	v_div_fixup_f32 v9, v9, v8, 0x4b6c15fd
	s_delay_alu instid0(VALU_DEP_1) | instskip(NEXT) | instid1(VALU_DEP_1)
	v_add_f32_e32 v9, 0xcaa08b90, v9
	v_div_scale_f32 v13, null, v8, v8, v9
	s_delay_alu instid0(VALU_DEP_1) | instskip(SKIP_1) | instid1(TRANS32_DEP_1)
	v_rcp_f32_e32 v16, v13
	v_nop
	v_fma_f32 v17, -v13, v16, 1.0
	s_delay_alu instid0(VALU_DEP_1) | instskip(SKIP_1) | instid1(VALU_DEP_1)
	v_fmac_f32_e32 v16, v17, v16
	v_div_scale_f32 v17, vcc_lo, v9, v8, v9
	v_mul_f32_e32 v20, v17, v16
	s_delay_alu instid0(VALU_DEP_1) | instskip(NEXT) | instid1(VALU_DEP_1)
	v_fma_f32 v21, -v13, v20, v17
	v_fmac_f32_e32 v20, v21, v16
	s_delay_alu instid0(VALU_DEP_1) | instskip(NEXT) | instid1(VALU_DEP_1)
	v_fma_f32 v13, -v13, v20, v17
	v_div_fmas_f32 v13, v13, v16, v20
	s_delay_alu instid0(VALU_DEP_1) | instskip(SKIP_1) | instid1(VALU_DEP_1)
	v_div_fixup_f32 v9, v13, v8, v9
	v_div_scale_f32 v13, null, v8, v8, 0x3e48f136
	v_rcp_f32_e32 v16, v13
	v_nop
	s_delay_alu instid0(TRANS32_DEP_1) | instskip(NEXT) | instid1(VALU_DEP_1)
	v_fma_f32 v17, -v13, v16, 1.0
	v_dual_fmaak_f32 v5, v8, v5, 0x4004fd88 :: v_dual_fmac_f32 v16, v17, v16
	v_div_scale_f32 v17, vcc_lo, 0x3e48f136, v8, 0x3e48f136
	s_delay_alu instid0(VALU_DEP_1) | instskip(NEXT) | instid1(VALU_DEP_1)
	v_dual_fmaak_f32 v5, v8, v5, 0xc2c8edee :: v_dual_mul_f32 v20, v17, v16
	v_fmaak_f32 v5, v8, v5, 0x454500fa
	s_delay_alu instid0(VALU_DEP_2) | instskip(NEXT) | instid1(VALU_DEP_1)
	v_fma_f32 v21, -v13, v20, v17
	v_dual_fmaak_f32 v5, v8, v5, 0xc774f179 :: v_dual_fmac_f32 v20, v21, v16
	s_delay_alu instid0(VALU_DEP_1) | instskip(SKIP_1) | instid1(VALU_DEP_3)
	v_fmac_f32_e32 v9, v8, v5
	v_mul_f32_e32 v5, 0x3e701b7a, v4
	v_fma_f32 v13, -v13, v20, v17
	s_delay_alu instid0(VALU_DEP_1) | instskip(NEXT) | instid1(VALU_DEP_1)
	v_div_fmas_f32 v13, v13, v16, v20
	v_div_fixup_f32 v13, v13, v8, 0x3e48f136
	s_delay_alu instid0(VALU_DEP_1) | instskip(NEXT) | instid1(VALU_DEP_1)
	v_add_f32_e32 v13, 0xbefe708c, v13
	v_div_scale_f32 v16, null, v8, v8, v13
	s_delay_alu instid0(VALU_DEP_1) | instskip(SKIP_1) | instid1(TRANS32_DEP_1)
	v_rcp_f32_e32 v17, v16
	v_nop
	v_fma_f32 v20, -v16, v17, 1.0
	s_delay_alu instid0(VALU_DEP_1) | instskip(SKIP_1) | instid1(VALU_DEP_1)
	v_fmac_f32_e32 v17, v20, v17
	v_div_scale_f32 v20, vcc_lo, v13, v8, v13
	v_mul_f32_e32 v21, v20, v17
	s_delay_alu instid0(VALU_DEP_1) | instskip(NEXT) | instid1(VALU_DEP_1)
	v_fma_f32 v97, -v16, v21, v20
	v_fmac_f32_e32 v21, v97, v17
	s_delay_alu instid0(VALU_DEP_1) | instskip(NEXT) | instid1(VALU_DEP_1)
	v_fma_f32 v16, -v16, v21, v20
	v_div_fmas_f32 v16, v16, v17, v21
	s_delay_alu instid0(VALU_DEP_1) | instskip(SKIP_1) | instid1(VALU_DEP_1)
	v_div_fixup_f32 v8, v16, v8, v13
	v_mov_b64_e32 v[16:17], 0x493b49f6b87c50a3
	v_pk_add_f32 v[8:9], v[8:9], v[16:17]
	s_delay_alu instid0(VALU_DEP_1) | instskip(NEXT) | instid1(VALU_DEP_1)
	v_pk_fma_f32 v[4:5], v[12:13], v[8:9], v[4:5] op_sel_hi:[0,1,1]
                                        ; implicit-def: $vgpr8
	v_sub_f32_e32 v4, v4, v5
	s_delay_alu instid0(VALU_DEP_1) | instskip(NEXT) | instid1(VALU_DEP_1)
	v_sub_f32_e32 v4, v4, v6
	v_sub_f32_e32 v4, v4, v7
.LBB0_67:
	s_and_not1_saveexec_b32 s12, s1
	s_cbranch_execz .LBB0_73
; %bb.68:
	v_div_scale_f32 v0, null, v8, v8, 0x3f490fdb
	v_div_scale_f32 v3, vcc_lo, 0x3f490fdb, v8, 0x3f490fdb
	s_delay_alu instid0(VALU_DEP_2) | instskip(SKIP_1) | instid1(TRANS32_DEP_1)
	v_rcp_f32_e32 v1, v0
	v_nop
	v_fma_f32 v2, -v0, v1, 1.0
	s_delay_alu instid0(VALU_DEP_1) | instskip(NEXT) | instid1(VALU_DEP_1)
	v_fmac_f32_e32 v1, v2, v1
	v_mul_f32_e32 v2, v3, v1
	s_delay_alu instid0(VALU_DEP_1) | instskip(NEXT) | instid1(VALU_DEP_1)
	v_fma_f32 v4, -v0, v2, v3
	v_fmac_f32_e32 v2, v4, v1
	s_delay_alu instid0(VALU_DEP_1) | instskip(NEXT) | instid1(VALU_DEP_1)
	v_fma_f32 v0, -v0, v2, v3
	v_div_fmas_f32 v0, v0, v1, v2
	s_delay_alu instid0(VALU_DEP_1) | instskip(NEXT) | instid1(VALU_DEP_1)
	v_div_fixup_f32 v0, v0, v8, 0x3f490fdb
	v_mul_f32_e32 v1, 0x4f800000, v0
	v_cmp_gt_f32_e32 vcc_lo, 0xf800000, v0
	s_delay_alu instid0(VALU_DEP_2) | instskip(NEXT) | instid1(VALU_DEP_1)
	v_cndmask_b32_e32 v0, v0, v1, vcc_lo
	v_sqrt_f32_e32 v1, v0
	v_nop
	s_delay_alu instid0(TRANS32_DEP_1) | instskip(NEXT) | instid1(VALU_DEP_1)
	v_dual_add_nc_u32 v2, -1, v1 :: v_dual_add_nc_u32 v3, 1, v1
	v_dual_fma_f32 v4, -v2, v1, v0 :: v_dual_fma_f32 v5, -v3, v1, v0
	s_delay_alu instid0(VALU_DEP_1) | instskip(NEXT) | instid1(VALU_DEP_1)
	v_cmp_ge_f32_e64 s0, 0, v4
	v_cndmask_b32_e64 v1, v1, v2, s0
	s_delay_alu instid0(VALU_DEP_3) | instskip(NEXT) | instid1(VALU_DEP_1)
	v_cmp_lt_f32_e64 s0, 0, v5
                                        ; implicit-def: $vgpr5
	v_cndmask_b32_e64 v1, v1, v3, s0
	v_cmp_class_f32_e64 s0, v0, 0x260
	s_delay_alu instid0(VALU_DEP_2) | instskip(NEXT) | instid1(VALU_DEP_1)
	v_mul_f32_e32 v2, 0x37800000, v1
	v_cndmask_b32_e32 v1, v1, v2, vcc_lo
	s_delay_alu instid0(VALU_DEP_1)
	v_cndmask_b32_e64 v12, v1, v0, s0
	s_mov_b32 s0, exec_lo
                                        ; implicit-def: $vgpr2_vgpr3
	v_cmpx_ge_f32_e32 0x42540000, v8
	s_xor_b32 s0, exec_lo, s0
	s_cbranch_execz .LBB0_70
; %bb.69:
	v_mul_f32_e32 v0, 0xbfb8aa3b, v8
	v_cmp_nlt_f32_e32 vcc_lo, 0x42ce8ed0, v8
	s_mov_b32 s1, 0x3e76c4e1
	s_delay_alu instid0(VALU_DEP_2) | instskip(NEXT) | instid1(VALU_DEP_1)
	v_rndne_f32_e32 v1, v0
	v_sub_f32_e32 v2, v0, v1
	v_fma_f32 v0, 0xbfb8aa3b, v8, -v0
	v_cvt_i32_f32_e32 v1, v1
	s_delay_alu instid0(VALU_DEP_2) | instskip(NEXT) | instid1(VALU_DEP_1)
	v_fmamk_f32 v0, v8, 0xb2a5705f, v0
	v_add_f32_e32 v0, v2, v0
	s_delay_alu instid0(VALU_DEP_1) | instskip(SKIP_1) | instid1(TRANS32_DEP_1)
	v_exp_f32_e32 v0, v0
	v_nop
	v_ldexp_f32 v0, v0, v1
	v_frexp_mant_f32_e32 v1, v8
	s_delay_alu instid0(VALU_DEP_2) | instskip(SKIP_1) | instid1(VALU_DEP_2)
	v_cndmask_b32_e32 v0, 0, v0, vcc_lo
	v_cmp_ngt_f32_e32 vcc_lo, 0xc2b17218, v8
	v_cndmask_b32_e32 v9, 0x7f800000, v0, vcc_lo
	v_cmp_eq_f32_e32 vcc_lo, 1.0, v8
	v_cndmask_b32_e64 v0, 4.0, 1.0, vcc_lo
	v_cmp_gt_f32_e32 vcc_lo, 0x3f2aaaab, v1
	v_cndmask_b32_e64 v2, 1.0, 2.0, vcc_lo
	s_delay_alu instid0(VALU_DEP_1) | instskip(NEXT) | instid1(VALU_DEP_1)
	v_mul_f32_e32 v1, v1, v2
	v_add_f32_e32 v2, 1.0, v1
	s_delay_alu instid0(VALU_DEP_1) | instskip(SKIP_1) | instid1(VALU_DEP_1)
	v_add_f32_e32 v3, -1.0, v2
	v_rcp_f32_e32 v13, v2
	v_dual_sub_f32 v5, v1, v3 :: v_dual_add_f32 v3, -1.0, v1
	s_delay_alu instid0(TRANS32_DEP_1) | instid1(VALU_DEP_1)
	v_mul_f32_e32 v1, v3, v13
	s_delay_alu instid0(VALU_DEP_1) | instskip(NEXT) | instid1(VALU_DEP_1)
	v_mul_f32_e32 v4, v2, v1
	v_fma_f32 v6, v1, v2, -v4
	s_delay_alu instid0(VALU_DEP_1) | instskip(NEXT) | instid1(VALU_DEP_1)
	v_fmac_f32_e32 v6, v1, v5
	v_add_f32_e32 v2, v4, v6
	s_delay_alu instid0(VALU_DEP_1) | instskip(NEXT) | instid1(VALU_DEP_1)
	v_dual_sub_f32 v5, v3, v2 :: v_dual_mov_b32 v7, v2
	v_pk_add_f32 v[16:17], v[2:3], v[4:5] neg_lo:[0,1] neg_hi:[0,1]
	s_delay_alu instid0(VALU_DEP_1) | instskip(NEXT) | instid1(VALU_DEP_1)
	v_pk_add_f32 v[2:3], v[16:17], v[6:7] neg_lo:[0,1] neg_hi:[0,1]
	v_add_f32_e32 v2, v2, v3
	s_delay_alu instid0(VALU_DEP_1) | instskip(NEXT) | instid1(VALU_DEP_1)
	v_add_f32_e32 v2, v5, v2
	v_mul_f32_e32 v3, v13, v2
	s_delay_alu instid0(VALU_DEP_1) | instskip(NEXT) | instid1(VALU_DEP_1)
	v_add_f32_e32 v2, v1, v3
	v_sub_f32_e32 v1, v2, v1
	s_delay_alu instid0(VALU_DEP_1) | instskip(NEXT) | instid1(VALU_DEP_1)
	v_sub_f32_e32 v1, v3, v1
	v_dual_add_f32 v4, v1, v1 :: v_dual_mul_f32 v3, v2, v2
	s_delay_alu instid0(VALU_DEP_1) | instskip(NEXT) | instid1(VALU_DEP_1)
	v_fma_f32 v5, v2, v2, -v3
	v_fmac_f32_e32 v5, v2, v4
	s_delay_alu instid0(VALU_DEP_1) | instskip(NEXT) | instid1(VALU_DEP_1)
	v_add_f32_e32 v4, v3, v5
	v_dual_sub_f32 v3, v4, v3 :: v_dual_fmaak_f32 v6, s1, v4, 0x3e91f4c4
	s_mov_b32 s1, 0x3a219432
	s_delay_alu instid0(VALU_DEP_1) | instskip(NEXT) | instid1(VALU_DEP_1)
	v_dual_sub_f32 v13, v5, v3 :: v_dual_fmaak_f32 v6, v4, v6, 0x3ecccdef
	v_mul_f32_e32 v3, v4, v6
	s_delay_alu instid0(VALU_DEP_1) | instskip(NEXT) | instid1(VALU_DEP_1)
	v_fma_f32 v5, v4, v6, -v3
	v_fmac_f32_e32 v5, v13, v6
	s_delay_alu instid0(VALU_DEP_1) | instskip(NEXT) | instid1(VALU_DEP_1)
	v_add_f32_e32 v6, v3, v5
	v_sub_f32_e32 v3, v6, v3
	s_delay_alu instid0(VALU_DEP_1) | instskip(NEXT) | instid1(VALU_DEP_1)
	v_sub_f32_e32 v3, v5, v3
	v_add_f32_e32 v3, 0x31739010, v3
	v_add_f32_e32 v7, 0x3f2aaaaa, v6
	s_delay_alu instid0(VALU_DEP_1) | instskip(NEXT) | instid1(VALU_DEP_1)
	v_add_f32_e32 v5, 0xbf2aaaaa, v7
	v_sub_f32_e32 v5, v6, v5
	s_delay_alu instid0(VALU_DEP_1) | instskip(SKIP_1) | instid1(VALU_DEP_1)
	v_pk_mul_f32 v[16:17], v[2:3], v[4:5]
	v_pk_add_f32 v[20:21], v[2:3], v[4:5]
	v_dual_fma_f32 v6, v4, v2, -v16 :: v_dual_mov_b32 v17, v21
	s_delay_alu instid0(VALU_DEP_1) | instskip(SKIP_1) | instid1(VALU_DEP_2)
	v_fmac_f32_e32 v6, v4, v1
	v_ldexp_f32 v1, v1, 1
	v_fmac_f32_e32 v6, v13, v2
	s_delay_alu instid0(VALU_DEP_1) | instskip(NEXT) | instid1(VALU_DEP_1)
	v_pk_add_f32 v[4:5], v[16:17], v[6:7]
	v_sub_f32_e32 v3, v4, v16
	s_delay_alu instid0(VALU_DEP_1) | instskip(NEXT) | instid1(VALU_DEP_1)
	v_dual_sub_f32 v3, v6, v3 :: v_dual_sub_f32 v6, v7, v5
	v_add_f32_e32 v13, v21, v6
	v_mov_b32_e32 v6, v5
	v_ldexp_f32 v21, v2, 1
	s_delay_alu instid0(VALU_DEP_2) | instskip(NEXT) | instid1(VALU_DEP_1)
	v_pk_mul_f32 v[6:7], v[4:5], v[6:7]
	v_fma_f32 v16, v4, v5, -v6
	s_delay_alu instid0(VALU_DEP_1) | instskip(NEXT) | instid1(VALU_DEP_1)
	v_fmac_f32_e32 v16, v4, v13
	v_fmac_f32_e32 v16, v3, v5
	v_cvt_f64_f32_e32 v[4:5], v8
	s_delay_alu instid0(VALU_DEP_1) | instskip(NEXT) | instid1(VALU_DEP_1)
	v_frexp_exp_i32_f64_e32 v3, v[4:5]
	v_subrev_co_ci_u32_e64 v3, null, 0, v3, vcc_lo
	s_delay_alu instid0(VALU_DEP_1) | instskip(NEXT) | instid1(VALU_DEP_1)
	v_cvt_f32_i32_e32 v3, v3
	v_mul_f32_e32 v4, 0x3f317218, v3
	s_delay_alu instid0(VALU_DEP_1) | instskip(NEXT) | instid1(VALU_DEP_1)
	v_fma_f32 v5, 0x3f317218, v3, -v4
	v_dual_fmamk_f32 v20, v3, 0xb102e308, v5 :: v_dual_add_f32 v5, v6, v16
	s_delay_alu instid0(VALU_DEP_1) | instskip(NEXT) | instid1(VALU_DEP_2)
	v_dual_mov_b32 v7, v21 :: v_dual_mov_b32 v17, v5
	v_pk_add_f32 v[2:3], v[4:5], v[20:21]
	s_delay_alu instid0(VALU_DEP_1) | instskip(NEXT) | instid1(VALU_DEP_2)
	v_dual_mov_b32 v98, v5 :: v_dual_mov_b32 v99, v3
	v_mov_b32_e32 v21, v2
	s_delay_alu instid0(VALU_DEP_2) | instskip(NEXT) | instid1(VALU_DEP_1)
	v_pk_add_f32 v[6:7], v[98:99], v[6:7] neg_lo:[0,1] neg_hi:[0,1]
	v_pk_add_f32 v[6:7], v[16:17], v[6:7] neg_lo:[0,1] neg_hi:[0,1]
	s_delay_alu instid0(VALU_DEP_1) | instskip(NEXT) | instid1(VALU_DEP_1)
	v_add_f32_e32 v1, v1, v6
	v_add_f32_e32 v5, v1, v7
	s_delay_alu instid0(VALU_DEP_1) | instskip(SKIP_1) | instid1(VALU_DEP_2)
	v_pk_add_f32 v[16:17], v[2:3], v[4:5]
	v_pk_add_f32 v[6:7], v[2:3], v[4:5] neg_lo:[0,1] neg_hi:[0,1]
	v_mov_b32_e32 v7, v17
	s_delay_alu instid0(VALU_DEP_1) | instskip(SKIP_1) | instid1(VALU_DEP_1)
	v_pk_add_f32 v[98:99], v[20:21], v[6:7] neg_lo:[0,1] neg_hi:[0,1]
	v_pk_add_f32 v[6:7], v[20:21], v[6:7]
	v_dual_mov_b32 v6, v17 :: v_dual_mov_b32 v4, v7
	v_mov_b32_e32 v99, v7
	s_delay_alu instid0(VALU_DEP_2) | instskip(NEXT) | instid1(VALU_DEP_1)
	v_pk_add_f32 v[20:21], v[4:5], v[2:3] neg_lo:[0,1] neg_hi:[0,1]
	v_mov_b32_e32 v1, v20
	s_delay_alu instid0(VALU_DEP_1) | instskip(SKIP_2) | instid1(VALU_DEP_2)
	v_pk_add_f32 v[100:101], v[16:17], v[0:1] neg_lo:[0,1] neg_hi:[0,1]
	v_dual_mov_b32 v16, v3 :: v_dual_mov_b32 v17, v20
	v_mov_b32_e32 v100, v98
	v_pk_add_f32 v[6:7], v[6:7], v[16:17] neg_lo:[0,1] neg_hi:[0,1]
	v_dual_mov_b32 v16, v5 :: v_dual_mov_b32 v17, v2
	s_delay_alu instid0(VALU_DEP_1) | instskip(NEXT) | instid1(VALU_DEP_1)
	v_pk_add_f32 v[2:3], v[16:17], v[6:7] neg_lo:[0,1] neg_hi:[0,1]
	v_pk_add_f32 v[6:7], v[100:101], v[2:3]
	s_delay_alu instid0(VALU_DEP_1) | instskip(NEXT) | instid1(VALU_DEP_1)
	v_mov_b32_e32 v16, v7
	v_pk_add_f32 v[16:17], v[6:7], v[16:17]
	s_delay_alu instid0(VALU_DEP_1) | instskip(NEXT) | instid1(VALU_DEP_1)
	v_pk_add_f32 v[4:5], v[4:5], v[16:17]
	v_dual_mov_b32 v3, v16 :: v_dual_mov_b32 v7, v4
	s_delay_alu instid0(VALU_DEP_1) | instskip(NEXT) | instid1(VALU_DEP_1)
	v_pk_add_f32 v[20:21], v[6:7], v[98:99] neg_lo:[0,1] neg_hi:[0,1]
	v_sub_f32_e32 v1, v6, v20
	s_delay_alu instid0(VALU_DEP_2) | instskip(SKIP_2) | instid1(VALU_DEP_4)
	v_pk_add_f32 v[2:3], v[2:3], v[20:21] neg_lo:[0,1] neg_hi:[0,1]
	v_mov_b64_e32 v[6:7], 0xbdf3ef08bd383f42
	v_mov_b64_e32 v[20:21], 0xbc14f7f1ba3493bb
	v_sub_f32_e32 v1, v98, v1
	v_mov_b64_e32 v[98:99], 0xb8a5812bbb77644e
	s_delay_alu instid0(VALU_DEP_2) | instskip(NEXT) | instid1(VALU_DEP_1)
	v_add_f32_e32 v1, v2, v1
	v_add_f32_e32 v1, v1, v3
	s_delay_alu instid0(VALU_DEP_1) | instskip(NEXT) | instid1(VALU_DEP_1)
	v_add_f32_e32 v2, v4, v1
	v_sub_f32_e32 v3, v2, v4
	s_delay_alu instid0(VALU_DEP_1) | instskip(NEXT) | instid1(VALU_DEP_1)
	v_dual_sub_f32 v1, v1, v3 :: v_dual_mul_f32 v3, v0, v2
	v_fma_f32 v2, v0, v2, -v3
	v_cmp_class_f32_e64 vcc_lo, v3, 0x204
	s_delay_alu instid0(VALU_DEP_2) | instskip(NEXT) | instid1(VALU_DEP_1)
	v_fmac_f32_e32 v2, v0, v1
	v_add_f32_e32 v0, v3, v2
	s_delay_alu instid0(VALU_DEP_1) | instskip(NEXT) | instid1(VALU_DEP_1)
	v_dual_sub_f32 v1, v0, v3 :: v_dual_cndmask_b32 v0, v0, v3
	v_sub_f32_e32 v1, v2, v1
	s_delay_alu instid0(VALU_DEP_2) | instskip(NEXT) | instid1(VALU_DEP_2)
	v_cmp_neq_f32_e64 vcc_lo, 0x7f800000, |v0|
	v_cndmask_b32_e32 v1, 0, v1, vcc_lo
	v_cmp_eq_f32_e32 vcc_lo, 0x42b17218, v0
	s_delay_alu instid0(VALU_DEP_3) | instskip(NEXT) | instid1(VALU_DEP_1)
	v_cndmask_b32_e64 v2, 0, 0x37000000, vcc_lo
	v_dual_sub_f32 v0, v0, v2 :: v_dual_add_f32 v1, v2, v1
	s_delay_alu instid0(VALU_DEP_1) | instskip(SKIP_1) | instid1(VALU_DEP_2)
	v_mul_f32_e32 v2, 0x3fb8aa3b, v0
	v_cmp_ngt_f32_e32 vcc_lo, 0xc2ce8ed0, v0
	v_fma_f32 v3, 0x3fb8aa3b, v0, -v2
	v_rndne_f32_e32 v4, v2
	s_delay_alu instid0(VALU_DEP_1) | instskip(NEXT) | instid1(VALU_DEP_1)
	v_dual_fmamk_f32 v3, v0, 0x32a5705f, v3 :: v_dual_sub_f32 v2, v2, v4
	v_add_f32_e32 v2, v2, v3
	v_cvt_i32_f32_e32 v3, v4
	s_delay_alu instid0(VALU_DEP_2) | instskip(SKIP_1) | instid1(TRANS32_DEP_1)
	v_exp_f32_e32 v2, v2
	v_nop
	v_ldexp_f32 v2, v2, v3
	s_delay_alu instid0(VALU_DEP_1) | instskip(SKIP_1) | instid1(VALU_DEP_2)
	v_cndmask_b32_e32 v2, 0, v2, vcc_lo
	v_cmp_nlt_f32_e32 vcc_lo, 0x42b17218, v0
	v_cndmask_b32_e32 v0, 0x7f800000, v2, vcc_lo
	v_mov_b64_e32 v[2:3], 0xc1096b0dc07b535f
	s_delay_alu instid0(VALU_DEP_2) | instskip(SKIP_1) | instid1(VALU_DEP_3)
	v_fma_f32 v1, v0, v1, v0
	v_cmp_class_f32_e64 vcc_lo, v0, 0x204
	v_pk_add_f32 v[4:5], v[8:9], v[2:3] op_sel_hi:[0,1]
	v_mov_b64_e32 v[2:3], 0xbb0f9cc4ba7d3098
	s_delay_alu instid0(VALU_DEP_4) | instskip(NEXT) | instid1(VALU_DEP_2)
	v_cndmask_b32_e32 v0, v1, v0, vcc_lo
	v_pk_fma_f32 v[2:3], v[8:9], v[2:3], v[6:7] op_sel_hi:[0,1,1]
	v_mov_b64_e32 v[6:7], 0xbf400fa63f1bd945
	s_delay_alu instid0(VALU_DEP_3) | instskip(SKIP_1) | instid1(VALU_DEP_3)
	v_and_b32_e32 v1, 0x7fffffff, v0
	v_div_scale_f32 v0, null, v5, v5, 0x41096b0d
	v_pk_fma_f32 v[2:3], v[8:9], v[2:3], v[6:7] op_sel_hi:[0,1,1]
	s_delay_alu instid0(VALU_DEP_2) | instskip(SKIP_1) | instid1(TRANS32_DEP_1)
	v_rcp_f32_e32 v6, v0
	v_nop
	v_fma_f32 v7, -v0, v6, 1.0
	s_delay_alu instid0(VALU_DEP_1) | instskip(SKIP_1) | instid1(VALU_DEP_1)
	v_fmac_f32_e32 v6, v7, v6
	v_div_scale_f32 v7, vcc_lo, 0x41096b0d, v5, 0x41096b0d
	v_mul_f32_e32 v13, v7, v6
	s_delay_alu instid0(VALU_DEP_1) | instskip(NEXT) | instid1(VALU_DEP_1)
	v_fma_f32 v16, -v0, v13, v7
	v_fmac_f32_e32 v13, v16, v6
	s_delay_alu instid0(VALU_DEP_1) | instskip(NEXT) | instid1(VALU_DEP_1)
	v_fma_f32 v0, -v0, v13, v7
	v_div_fmas_f32 v0, v0, v6, v13
	s_delay_alu instid0(VALU_DEP_1) | instskip(SKIP_1) | instid1(VALU_DEP_1)
	v_div_fixup_f32 v5, v0, v5, 0x41096b0d
	v_div_scale_f32 v0, null, v4, v4, 0x407b535f
	v_rcp_f32_e32 v6, v0
	v_nop
	s_delay_alu instid0(TRANS32_DEP_1) | instskip(NEXT) | instid1(VALU_DEP_1)
	v_fma_f32 v7, -v0, v6, 1.0
	v_fmac_f32_e32 v6, v7, v6
	v_div_scale_f32 v7, vcc_lo, 0x407b535f, v4, 0x407b535f
	s_delay_alu instid0(VALU_DEP_1) | instskip(NEXT) | instid1(VALU_DEP_1)
	v_mul_f32_e32 v13, v7, v6
	v_fma_f32 v16, -v0, v13, v7
	s_delay_alu instid0(VALU_DEP_1) | instskip(NEXT) | instid1(VALU_DEP_1)
	v_fmac_f32_e32 v13, v16, v6
	v_fma_f32 v0, -v0, v13, v7
	s_delay_alu instid0(VALU_DEP_1) | instskip(SKIP_1) | instid1(VALU_DEP_2)
	v_div_fmas_f32 v0, v0, v6, v13
	v_mov_b64_e32 v[6:7], 0xbfab678abe14ca72
	v_div_fixup_f32 v4, v0, v4, 0x407b535f
	s_delay_alu instid0(VALU_DEP_2) | instskip(SKIP_1) | instid1(VALU_DEP_2)
	v_pk_add_f32 v[16:17], v[8:9], v[6:7] op_sel_hi:[0,1]
	v_mov_b64_e32 v[6:7], 0xb9be174bb82af128
	v_div_scale_f32 v0, null, v17, v17, 0x3fab678a
	s_delay_alu instid0(VALU_DEP_2) | instskip(SKIP_1) | instid1(VALU_DEP_3)
	v_pk_fma_f32 v[6:7], v[8:9], v[6:7], v[20:21] op_sel_hi:[0,1,1]
	v_mov_b64_e32 v[20:21], 0x3e3cc2c73c8f228e
	v_rcp_f32_e32 v13, v0
	s_delay_alu instid0(VALU_DEP_1) | instskip(NEXT) | instid1(TRANS32_DEP_1)
	v_pk_fma_f32 v[6:7], v[8:9], v[6:7], v[20:21] op_sel_hi:[0,1,1]
	v_fma_f32 v20, -v0, v13, 1.0
	s_delay_alu instid0(VALU_DEP_1) | instskip(SKIP_1) | instid1(VALU_DEP_1)
	v_fmac_f32_e32 v13, v20, v13
	v_div_scale_f32 v20, vcc_lo, 0x3fab678a, v17, 0x3fab678a
	v_mul_f32_e32 v21, v20, v13
	s_delay_alu instid0(VALU_DEP_1) | instskip(NEXT) | instid1(VALU_DEP_1)
	v_fma_f32 v97, -v0, v21, v20
	v_fmac_f32_e32 v21, v97, v13
	s_delay_alu instid0(VALU_DEP_1) | instskip(NEXT) | instid1(VALU_DEP_1)
	v_fma_f32 v0, -v0, v21, v20
	v_div_fmas_f32 v0, v0, v13, v21
	s_delay_alu instid0(VALU_DEP_1) | instskip(SKIP_1) | instid1(VALU_DEP_1)
	v_div_fixup_f32 v17, v0, v17, 0x3fab678a
	v_div_scale_f32 v0, null, v16, v16, 0x3e14ca72
	v_rcp_f32_e32 v13, v0
	v_nop
	s_delay_alu instid0(TRANS32_DEP_1) | instskip(NEXT) | instid1(VALU_DEP_1)
	v_fma_f32 v20, -v0, v13, 1.0
	v_fmac_f32_e32 v13, v20, v13
	v_div_scale_f32 v20, vcc_lo, 0x3e14ca72, v16, 0x3e14ca72
	s_delay_alu instid0(VALU_DEP_1) | instskip(NEXT) | instid1(VALU_DEP_1)
	v_mul_f32_e32 v21, v20, v13
	v_fma_f32 v97, -v0, v21, v20
	s_delay_alu instid0(VALU_DEP_1) | instskip(NEXT) | instid1(VALU_DEP_1)
	v_fmac_f32_e32 v21, v97, v13
	v_fma_f32 v0, -v0, v21, v20
	s_delay_alu instid0(VALU_DEP_1) | instskip(SKIP_1) | instid1(VALU_DEP_2)
	v_div_fmas_f32 v0, v0, v13, v21
	v_mov_b64_e32 v[20:21], 0x36c17c4f395a69c1
	v_div_fixup_f32 v16, v0, v16, 0x3e14ca72
	v_fmaak_f32 v0, s1, v8, 0xbc4f9ac2
	s_delay_alu instid0(VALU_DEP_3) | instskip(SKIP_1) | instid1(VALU_DEP_1)
	v_pk_fma_f32 v[20:21], v[8:9], v[20:21], v[98:99] op_sel_hi:[0,1,1]
	v_mov_b64_e32 v[98:99], 0x39ac1f683cabea3c
	v_pk_fma_f32 v[20:21], v[8:9], v[20:21], v[98:99] op_sel_hi:[0,1,1]
	s_delay_alu instid0(VALU_DEP_4) | instskip(NEXT) | instid1(VALU_DEP_1)
	v_pk_mul_f32 v[8:9], v[8:9], v[0:1]
	v_pk_fma_f32 v[0:1], v[6:7], v[8:9], v[16:17] op_sel:[0,1,0]
	v_mov_b64_e32 v[6:7], 0x396c2b783c9ddd0b
	v_pk_fma_f32 v[2:3], v[2:3], v[8:9], v[4:5] op_sel:[0,1,0]
	v_pk_mul_f32 v[4:5], v[20:21], v[8:9] op_sel:[0,1]
	s_delay_alu instid0(VALU_DEP_1) | instskip(SKIP_1) | instid1(VALU_DEP_1)
	v_pk_fma_f32 v[6:7], v[12:13], v[6:7], v[4:5] op_sel_hi:[0,1,1]
	v_add_f32_e32 v4, 0x3da6cf84, v8
                                        ; implicit-def: $vgpr8
	v_mul_f32_e32 v4, v4, v9
	s_delay_alu instid0(VALU_DEP_1) | instskip(NEXT) | instid1(VALU_DEP_1)
	v_fmamk_f32 v5, v12, 0x3e701b7a, v4
	v_sub_f32_e32 v4, v12, v5
                                        ; implicit-def: $vgpr12
	s_delay_alu instid0(VALU_DEP_1) | instskip(NEXT) | instid1(VALU_DEP_1)
	v_sub_f32_e32 v4, v4, v6
	v_sub_f32_e32 v4, v4, v7
.LBB0_70:
	s_and_not1_saveexec_b32 s13, s0
	s_cbranch_execz .LBB0_72
; %bb.71:
	v_mov_b64_e32 v[0:1], 0xbfab678abe14ca72
	v_mov_b64_e32 v[2:3], 0xc1096b0dc07b535f
	s_delay_alu instid0(VALU_DEP_2) | instskip(NEXT) | instid1(VALU_DEP_2)
	v_pk_add_f32 v[0:1], v[8:9], v[0:1] op_sel_hi:[0,1]
	v_pk_add_f32 v[2:3], v[8:9], v[2:3] op_sel_hi:[0,1]
	s_delay_alu instid0(VALU_DEP_2) | instskip(NEXT) | instid1(VALU_DEP_3)
	v_div_scale_f32 v4, null, v1, v1, 0x3fab678a
	v_div_scale_f32 v8, null, v0, v0, 0x3e14ca72
	s_delay_alu instid0(VALU_DEP_3) | instskip(NEXT) | instid1(VALU_DEP_4)
	v_div_scale_f32 v9, null, v3, v3, 0x41096b0d
	v_div_scale_f32 v13, null, v2, v2, 0x407b535f
	s_delay_alu instid0(VALU_DEP_4) | instskip(NEXT) | instid1(VALU_DEP_3)
	v_rcp_f32_e32 v17, v4
	v_rcp_f32_e32 v20, v8
	s_delay_alu instid0(VALU_DEP_2) | instskip(NEXT) | instid1(VALU_DEP_1)
	v_rcp_f32_e32 v21, v9
	v_rcp_f32_e32 v97, v13
	v_div_scale_f32 v16, vcc_lo, 0x3fab678a, v1, 0x3fab678a
	v_div_scale_f32 v98, s0, 0x3e14ca72, v0, 0x3e14ca72
	v_fma_f32 v5, -v4, v17, 1.0
	s_delay_alu instid0(TRANS32_DEP_3) | instskip(NEXT) | instid1(TRANS32_DEP_2)
	v_fma_f32 v6, -v8, v20, 1.0
	v_fma_f32 v7, -v9, v21, 1.0
	v_div_scale_f32 v99, s1, 0x41096b0d, v3, 0x41096b0d
	v_fma_f32 v100, -v13, v97, 1.0
	s_delay_alu instid0(VALU_DEP_4) | instskip(NEXT) | instid1(VALU_DEP_4)
	v_dual_fmac_f32 v17, v5, v17 :: v_dual_fmac_f32 v20, v6, v20
	v_fmac_f32_e32 v21, v7, v21
	v_div_scale_f32 v101, s2, 0x407b535f, v2, 0x407b535f
	v_mul_f32_e32 v5, 0x3e701b7a, v12
	s_delay_alu instid0(VALU_DEP_3) | instskip(SKIP_3) | instid1(VALU_DEP_4)
	v_dual_mul_f32 v102, v98, v20 :: v_dual_mul_f32 v103, v99, v21
	v_fmac_f32_e32 v97, v100, v97
	v_mul_f32_e32 v100, v16, v17
	v_mov_b64_e32 v[6:7], 0x396c2b783c9ddd0b
	v_fma_f32 v114, -v8, v102, v98
	s_delay_alu instid0(VALU_DEP_3) | instskip(NEXT) | instid1(VALU_DEP_2)
	v_dual_fma_f32 v113, -v4, v100, v16 :: v_dual_fma_f32 v115, -v9, v103, v99
	v_dual_mul_f32 v112, v101, v97 :: v_dual_fmac_f32 v102, v114, v20
	s_delay_alu instid0(VALU_DEP_4) | instskip(NEXT) | instid1(VALU_DEP_3)
	v_pk_mul_f32 v[6:7], v[12:13], v[6:7] op_sel_hi:[0,1]
	v_fmac_f32_e32 v100, v113, v17
	s_delay_alu instid0(VALU_DEP_3) | instskip(SKIP_1) | instid1(VALU_DEP_2)
	v_dual_fmac_f32 v103, v115, v21 :: v_dual_fma_f32 v116, -v13, v112, v101
	v_fmamk_f32 v117, v12, 0xbe701b7a, v12
	v_dual_fma_f32 v4, -v4, v100, v16 :: v_dual_fma_f32 v9, -v9, v103, v99
	s_delay_alu instid0(VALU_DEP_3) | instskip(NEXT) | instid1(VALU_DEP_1)
	v_fmac_f32_e32 v112, v116, v97
	v_dual_fma_f32 v8, -v8, v102, v98 :: v_dual_fma_f32 v12, -v13, v112, v101
	s_delay_alu instid0(VALU_DEP_4) | instskip(NEXT) | instid1(VALU_DEP_4)
	v_sub_f32_e32 v13, v117, v6
	v_div_fmas_f32 v4, v4, v17, v100
	s_mov_b32 vcc_lo, s0
	s_delay_alu instid0(VALU_DEP_3) | instskip(SKIP_1) | instid1(VALU_DEP_2)
	v_div_fmas_f32 v8, v8, v20, v102
	s_mov_b32 vcc_lo, s1
	v_div_fixup_f32 v1, v4, v1, 0x3fab678a
	v_div_fmas_f32 v9, v9, v21, v103
	s_mov_b32 vcc_lo, s2
	v_div_fixup_f32 v0, v8, v0, 0x3e14ca72
	v_div_fmas_f32 v12, v12, v97, v112
	v_sub_f32_e32 v4, v13, v7
	v_div_fixup_f32 v3, v9, v3, 0x41096b0d
	s_delay_alu instid0(VALU_DEP_3)
	v_div_fixup_f32 v2, v12, v2, 0x407b535f
.LBB0_72:
	s_or_b32 exec_lo, exec_lo, s13
.LBB0_73:
	s_delay_alu instid0(SALU_CYCLE_1)
	s_or_b32 exec_lo, exec_lo, s12
.LBB0_74:
	s_delay_alu instid0(SALU_CYCLE_1)
	s_or_b32 exec_lo, exec_lo, s11
.LBB0_75:
	s_delay_alu instid0(SALU_CYCLE_1)
	s_or_b32 exec_lo, exec_lo, s10
.LBB0_76:
	s_delay_alu instid0(SALU_CYCLE_1)
	s_or_b32 exec_lo, exec_lo, s9
.LBB0_77:
	s_delay_alu instid0(SALU_CYCLE_1)
	s_or_b32 exec_lo, exec_lo, s8
.LBB0_78:
	s_delay_alu instid0(SALU_CYCLE_1)
	s_or_b32 exec_lo, exec_lo, s7
.LBB0_79:
	s_delay_alu instid0(SALU_CYCLE_1)
	s_or_b32 exec_lo, exec_lo, s6
	s_clause 0x1
	scratch_store_b128 off, v[0:3], s32 offset:112
	scratch_store_b128 off, v[4:7], s32 offset:144
.LBB0_80:
	s_wait_xcnt 0x0
	s_or_b32 exec_lo, exec_lo, s5
.LBB0_81:
	s_delay_alu instid0(SALU_CYCLE_1)
	s_or_b32 exec_lo, exec_lo, s3
                                        ; implicit-def: $vgpr8
.LBB0_82:
	s_and_not1_saveexec_b32 s3, s4
	s_cbranch_execz .LBB0_221
; %bb.83:
                                        ; implicit-def: $vgpr5
                                        ; implicit-def: $vgpr1
                                        ; implicit-def: $vgpr2_vgpr3
                                        ; implicit-def: $vgpr7
                                        ; implicit-def: $vgpr12
	s_mov_b32 s0, exec_lo
	v_cmpx_ngt_f32_e32 0x34a10fb0, v8
	s_xor_b32 s4, exec_lo, s0
	s_cbranch_execz .LBB0_202
; %bb.84:
                                        ; implicit-def: $vgpr5
                                        ; implicit-def: $vgpr1
                                        ; implicit-def: $vgpr2_vgpr3
                                        ; implicit-def: $vgpr7
                                        ; implicit-def: $vgpr12
	s_mov_b32 s0, exec_lo
	v_cmpx_ngt_f32_e32 1.0, v8
	s_xor_b32 s5, exec_lo, s0
	s_cbranch_execz .LBB0_188
; %bb.85:
                                        ; implicit-def: $vgpr5
                                        ; implicit-def: $vgpr1
                                        ; implicit-def: $vgpr2_vgpr3
                                        ; implicit-def: $vgpr7
                                        ; implicit-def: $vgpr12
	s_mov_b32 s0, exec_lo
	v_cmpx_ngt_f32_e32 0x40400000, v8
	s_xor_b32 s6, exec_lo, s0
	s_cbranch_execz .LBB0_174
; %bb.86:
                                        ; implicit-def: $vgpr5
                                        ; implicit-def: $vgpr1
                                        ; implicit-def: $vgpr2_vgpr3
                                        ; implicit-def: $vgpr7
                                        ; implicit-def: $vgpr12
	s_mov_b32 s0, exec_lo
	v_cmpx_ngt_f32_e32 0x40a00000, v8
	;; [unrolled: 10-line block ×5, first 2 shown]
	s_xor_b32 s10, exec_lo, s0
	s_cbranch_execz .LBB0_111
; %bb.90:
	v_div_scale_f32 v0, null, v8, v8, 0x3f490fdb
	v_div_scale_f32 v3, vcc_lo, 0x3f490fdb, v8, 0x3f490fdb
                                        ; implicit-def: $vgpr7
                                        ; implicit-def: $vgpr12
	s_delay_alu instid0(VALU_DEP_2) | instskip(SKIP_1) | instid1(TRANS32_DEP_1)
	v_rcp_f32_e32 v1, v0
	v_nop
	v_fma_f32 v2, -v0, v1, 1.0
	s_delay_alu instid0(VALU_DEP_1) | instskip(NEXT) | instid1(VALU_DEP_1)
	v_fmac_f32_e32 v1, v2, v1
	v_mul_f32_e32 v2, v3, v1
	s_delay_alu instid0(VALU_DEP_1) | instskip(NEXT) | instid1(VALU_DEP_1)
	v_fma_f32 v4, -v0, v2, v3
	v_fmac_f32_e32 v2, v4, v1
	s_delay_alu instid0(VALU_DEP_1) | instskip(NEXT) | instid1(VALU_DEP_1)
	v_fma_f32 v0, -v0, v2, v3
	v_div_fmas_f32 v0, v0, v1, v2
	s_delay_alu instid0(VALU_DEP_1) | instskip(NEXT) | instid1(VALU_DEP_1)
	v_div_fixup_f32 v0, v0, v8, 0x3f490fdb
	v_mul_f32_e32 v1, 0x4f800000, v0
	v_cmp_gt_f32_e32 vcc_lo, 0xf800000, v0
	s_delay_alu instid0(VALU_DEP_2) | instskip(NEXT) | instid1(VALU_DEP_1)
	v_cndmask_b32_e32 v0, v0, v1, vcc_lo
	v_sqrt_f32_e32 v1, v0
	v_nop
	s_delay_alu instid0(TRANS32_DEP_1) | instskip(NEXT) | instid1(VALU_DEP_1)
	v_dual_add_nc_u32 v2, -1, v1 :: v_dual_add_nc_u32 v3, 1, v1
	v_dual_fma_f32 v4, -v2, v1, v0 :: v_dual_fma_f32 v5, -v3, v1, v0
	s_delay_alu instid0(VALU_DEP_1) | instskip(NEXT) | instid1(VALU_DEP_1)
	v_cmp_ge_f32_e64 s0, 0, v4
	v_cndmask_b32_e64 v1, v1, v2, s0
	s_delay_alu instid0(VALU_DEP_3) | instskip(NEXT) | instid1(VALU_DEP_1)
	v_cmp_lt_f32_e64 s0, 0, v5
                                        ; implicit-def: $vgpr5
	v_cndmask_b32_e64 v1, v1, v3, s0
	s_mov_b32 s0, exec_lo
	s_delay_alu instid0(VALU_DEP_1) | instskip(NEXT) | instid1(VALU_DEP_1)
	v_mul_f32_e32 v2, 0x37800000, v1
	v_cndmask_b32_e32 v1, v1, v2, vcc_lo
	v_cmp_class_f32_e64 vcc_lo, v0, 0x260
                                        ; implicit-def: $vgpr2_vgpr3
	s_delay_alu instid0(VALU_DEP_2)
	v_cndmask_b32_e32 v1, v1, v0, vcc_lo
	v_cmpx_lt_i32_e32 0, v32
	s_xor_b32 s11, exec_lo, s0
	s_cbranch_execz .LBB0_106
; %bb.91:
                                        ; implicit-def: $vgpr5
                                        ; implicit-def: $vgpr2_vgpr3
                                        ; implicit-def: $vgpr7
                                        ; implicit-def: $vgpr12
	s_mov_b32 s0, exec_lo
	v_cmpx_lt_i32_e32 1, v32
	s_xor_b32 s12, exec_lo, s0
	s_cbranch_execz .LBB0_99
; %bb.92:
	v_mov_b64_e32 v[2:3], 0
	v_dual_mov_b32 v5, 0 :: v_dual_mov_b32 v7, 0
	v_mov_b32_e32 v12, 0
	s_mov_b32 s13, exec_lo
	v_cmpx_eq_u32_e32 2, v32
	s_cbranch_execz .LBB0_98
; %bb.93:
                                        ; implicit-def: $vgpr5
                                        ; implicit-def: $vgpr2_vgpr3
                                        ; implicit-def: $vgpr7
                                        ; implicit-def: $vgpr12
	s_mov_b32 s0, exec_lo
	v_cmpx_ngt_f32_e32 0x423c0000, v8
	s_xor_b32 s2, exec_lo, s0
	s_cbranch_execz .LBB0_95
; %bb.94:
	v_mov_b64_e32 v[2:3], 0xbfe46a42be42ba39
	v_add_f32_e32 v9, 0xc0b0cf9e, v8
	s_delay_alu instid0(VALU_DEP_1) | instskip(NEXT) | instid1(VALU_DEP_3)
	v_div_scale_f32 v21, s0, 0x40b0cf9e, v9, 0x40b0cf9e
	v_pk_add_f32 v[2:3], v[8:9], v[2:3] op_sel_hi:[0,1]
	v_div_scale_f32 v8, null, v9, v9, 0x40b0cf9e
	s_delay_alu instid0(VALU_DEP_2) | instskip(NEXT) | instid1(VALU_DEP_2)
	v_div_scale_f32 v13, null, v2, v2, 0x3e42ba39
	v_rcp_f32_e32 v17, v8
	s_delay_alu instid0(VALU_DEP_3) | instskip(NEXT) | instid1(VALU_DEP_2)
	v_div_scale_f32 v12, null, v3, v3, 0x3fe46a42
	v_rcp_f32_e32 v20, v13
	v_div_scale_f32 v97, vcc_lo, 0x3fe46a42, v3, 0x3fe46a42
	s_delay_alu instid0(VALU_DEP_2) | instskip(NEXT) | instid1(TRANS32_DEP_3)
	v_rcp_f32_e32 v16, v12
	v_fma_f32 v4, -v8, v17, 1.0
	v_div_scale_f32 v98, s1, 0x3e42ba39, v2, 0x3e42ba39
	s_delay_alu instid0(TRANS32_DEP_2) | instskip(NEXT) | instid1(VALU_DEP_3)
	v_fma_f32 v5, -v13, v20, 1.0
	v_fmac_f32_e32 v17, v4, v17
	s_delay_alu instid0(TRANS32_DEP_1) | instskip(NEXT) | instid1(VALU_DEP_3)
	v_fma_f32 v0, -v12, v16, 1.0
	v_fmac_f32_e32 v20, v5, v20
	v_mov_b64_e32 v[4:5], 0x3ba77ef23e357c2c
	s_delay_alu instid0(VALU_DEP_3) | instskip(NEXT) | instid1(VALU_DEP_1)
	v_dual_mul_f32 v100, v21, v17 :: v_dual_fmac_f32 v16, v0, v16
	v_dual_mov_b32 v0, v1 :: v_dual_fma_f32 v103, -v8, v100, v21
	s_delay_alu instid0(VALU_DEP_2) | instskip(NEXT) | instid1(VALU_DEP_2)
	v_mul_f32_e32 v99, v97, v16
	v_pk_mul_f32 v[6:7], v[0:1], v[4:5] op_sel_hi:[0,1]
	s_delay_alu instid0(VALU_DEP_3) | instskip(NEXT) | instid1(VALU_DEP_2)
	v_dual_fmac_f32 v100, v103, v17 :: v_dual_mul_f32 v101, v98, v20
	v_dual_fma_f32 v102, -v12, v99, v97 :: v_dual_sub_f32 v0, v1, v6
	s_delay_alu instid0(VALU_DEP_2) | instskip(NEXT) | instid1(VALU_DEP_2)
	v_dual_fma_f32 v4, -v8, v100, v21 :: v_dual_fma_f32 v112, -v13, v101, v98
	v_fmac_f32_e32 v99, v102, v16
	s_delay_alu instid0(VALU_DEP_2) | instskip(NEXT) | instid1(VALU_DEP_1)
	v_fmac_f32_e32 v101, v112, v20
	v_dual_fma_f32 v1, -v12, v99, v97 :: v_dual_fma_f32 v5, -v13, v101, v98
	s_delay_alu instid0(VALU_DEP_1) | instskip(SKIP_2) | instid1(VALU_DEP_3)
	v_div_fmas_f32 v8, v1, v16, v99
	s_mov_b32 vcc_lo, s1
	v_sub_f32_e32 v1, v0, v7
	v_div_fmas_f32 v5, v5, v20, v101
	s_mov_b32 vcc_lo, s0
	v_div_fixup_f32 v3, v8, v3, 0x3fe46a42
	v_div_fmas_f32 v4, v4, v17, v100
                                        ; implicit-def: $vgpr8
	s_delay_alu instid0(VALU_DEP_3) | instskip(SKIP_1) | instid1(VALU_DEP_3)
	v_div_fixup_f32 v2, v5, v2, 0x3e42ba39
	v_mov_b32_e32 v5, v6
	v_div_fixup_f32 v12, v4, v9, 0x40b0cf9e
.LBB0_95:
	s_and_not1_saveexec_b32 s14, s2
	s_cbranch_execz .LBB0_97
; %bb.96:
	v_mov_b64_e32 v[2:3], 0xbfe46a42be42ba39
	v_add_f32_e32 v9, 0xc0b0cf9e, v8
	v_mov_b64_e32 v[4:5], 0xc293bec9c0ec7fab
	v_mov_b64_e32 v[6:7], 0x4543fb3243a0a8c0
	;; [unrolled: 1-line block ×3, first 2 shown]
	v_cmp_nlt_f32_e64 s2, 0x42ce8ed0, v8
	v_pk_add_f32 v[2:3], v[8:9], v[2:3] op_sel_hi:[0,1]
	s_delay_alu instid0(VALU_DEP_4) | instskip(NEXT) | instid1(VALU_DEP_2)
	v_pk_fma_f32 v[4:5], v[8:9], v[4:5], v[6:7] op_sel_hi:[0,1,1]
	v_div_scale_f32 v21, null, v3, v3, 0x3fe46a42
	s_delay_alu instid0(VALU_DEP_3) | instskip(SKIP_1) | instid1(VALU_DEP_3)
	v_div_scale_f32 v98, null, v2, v2, 0x3e42ba39
	v_div_scale_f32 v102, s1, 0x3e42ba39, v2, 0x3e42ba39
	v_rcp_f32_e32 v99, v21
	v_mul_f32_e32 v0, 0xbfb8aa3b, v8
	s_delay_alu instid0(VALU_DEP_3) | instskip(NEXT) | instid1(VALU_DEP_1)
	v_rcp_f32_e32 v100, v98
	v_fma_f32 v17, 0xbfb8aa3b, v8, -v0
	v_rndne_f32_e32 v16, v0
	s_delay_alu instid0(VALU_DEP_2) | instskip(NEXT) | instid1(TRANS32_DEP_1)
	v_fmamk_f32 v6, v8, 0xb2a5705f, v17
	v_fma_f32 v17, -v98, v100, 1.0
	s_delay_alu instid0(VALU_DEP_3) | instskip(SKIP_2) | instid1(VALU_DEP_1)
	v_sub_f32_e32 v0, v0, v16
	v_cvt_i32_f32_e32 v7, v16
	v_fma_f32 v16, -v21, v99, 1.0
	v_dual_fmac_f32 v100, v17, v100 :: v_dual_fmac_f32 v99, v16, v99
	s_delay_alu instid0(VALU_DEP_1) | instskip(SKIP_2) | instid1(VALU_DEP_3)
	v_dual_mul_f32 v103, v102, v100 :: v_dual_add_f32 v0, v0, v6
	v_div_scale_f32 v20, null, v9, v9, 0x40b0cf9e
	v_div_scale_f32 v6, vcc_lo, 0x3fe46a42, v3, 0x3fe46a42
	v_exp_f32_e32 v0, v0
	s_delay_alu instid0(VALU_DEP_2) | instskip(SKIP_1) | instid1(VALU_DEP_2)
	v_rcp_f32_e32 v101, v20
	v_div_scale_f32 v97, s0, 0x40b0cf9e, v9, 0x40b0cf9e
	v_mul_f32_e32 v16, v6, v99
	v_pk_fma_f32 v[4:5], v[8:9], v[4:5], v[12:13] op_sel_hi:[0,1,1]
	v_fma_f32 v12, -v98, v103, v102
	s_delay_alu instid0(TRANS32_DEP_2) | instskip(NEXT) | instid1(TRANS32_DEP_1)
	v_ldexp_f32 v0, v0, v7
	v_fma_f32 v17, -v20, v101, 1.0
	v_fma_f32 v7, -v21, v16, v6
	s_delay_alu instid0(VALU_DEP_2) | instskip(NEXT) | instid1(VALU_DEP_2)
	v_dual_cndmask_b32 v0, 0, v0, s2 :: v_dual_fmac_f32 v101, v17, v101
	v_fmac_f32_e32 v16, v7, v99
	v_cmp_ngt_f32_e64 s2, 0xc2b17218, v8
	v_fmac_f32_e32 v103, v12, v100
	v_mov_b64_e32 v[12:13], 0x4340fa35c5367ce7
	v_mul_f32_e32 v112, v97, v101
	v_fma_f32 v17, -v21, v16, v6
	v_cndmask_b32_e64 v0, 0x7f800000, v0, s2
	s_mov_b32 s2, 0x3e1be9c5
	v_mov_b32_e32 v6, 0x42760770
	v_dual_fma_f32 v21, -v20, v112, v97 :: v_dual_fma_f32 v98, -v98, v103, v102
	v_fmaak_f32 v7, s2, v8, 0xc104e7e9
	v_div_fmas_f32 v99, v17, v99, v16
	v_mov_b64_e32 v[16:17], 0xc4d1bc234714bf6e
	s_delay_alu instid0(VALU_DEP_4)
	v_fmac_f32_e32 v112, v21, v101
	s_mov_b32 vcc_lo, s1
	v_pk_fma_f32 v[6:7], v[8:9], v[6:7], v[12:13] op_sel_hi:[0,1,1]
	v_div_fmas_f32 v21, v98, v100, v103
	v_mov_b64_e32 v[12:13], 0x3ba77ef23e357c2c
	s_mov_b32 vcc_lo, s0
	s_mov_b32 s1, 0xc383e013
	v_pk_fma_f32 v[6:7], v[8:9], v[6:7], v[16:17] op_sel_hi:[0,1,1]
	v_dual_fma_f32 v17, -v20, v112, v97 :: v_dual_mov_b32 v16, v1
	v_div_fixup_f32 v3, v99, v3, 0x3fe46a42
	v_div_fixup_f32 v2, v21, v2, 0x3e42ba39
	s_delay_alu instid0(VALU_DEP_4) | instskip(NEXT) | instid1(VALU_DEP_4)
	v_pk_mul_f32 v[6:7], v[0:1], v[6:7] op_sel_hi:[0,1]
	v_div_fmas_f32 v17, v17, v101, v112
	s_delay_alu instid0(VALU_DEP_1) | instskip(SKIP_2) | instid1(VALU_DEP_2)
	v_pk_fma_f32 v[6:7], v[16:17], v[12:13], v[6:7] op_sel_hi:[0,1,1]
	v_fmaak_f32 v20, s1, v8, 0x462324de
	v_div_fixup_f32 v12, v17, v9, 0x40b0cf9e
	v_dual_sub_f32 v1, v1, v6 :: v_dual_fmaak_f32 v8, v8, v20, 0xc7fa2f4a
	s_delay_alu instid0(VALU_DEP_1) | instskip(NEXT) | instid1(VALU_DEP_2)
	v_pk_fma_f32 v[2:3], v[0:1], v[4:5], v[2:3] op_sel_hi:[0,1,1]
	v_dual_sub_f32 v1, v1, v7 :: v_dual_fmac_f32 v12, v0, v8
	v_mov_b32_e32 v5, v6
.LBB0_97:
	s_or_b32 exec_lo, exec_lo, s14
.LBB0_98:
	s_delay_alu instid0(SALU_CYCLE_1)
	s_or_b32 exec_lo, exec_lo, s13
                                        ; implicit-def: $vgpr8
.LBB0_99:
	s_and_not1_saveexec_b32 s2, s12
	s_cbranch_execz .LBB0_105
; %bb.100:
	v_mul_f32_e32 v5, 0x3dbbe852, v1
                                        ; implicit-def: $vgpr2_vgpr3
	s_mov_b32 s0, exec_lo
	v_cmpx_ngt_f32_e32 0x42200000, v8
	s_xor_b32 s1, exec_lo, s0
	s_cbranch_execz .LBB0_102
; %bb.101:
	v_mov_b64_e32 v[2:3], 0xc02e6238be8cee3d
	v_fmamk_f32 v1, v1, 0xbdbbe852, v1
	s_delay_alu instid0(VALU_DEP_2) | instskip(NEXT) | instid1(VALU_DEP_1)
	v_pk_add_f32 v[2:3], v[8:9], v[2:3] op_sel_hi:[0,1]
	v_div_scale_f32 v0, null, v3, v3, 0x402e6238
	s_delay_alu instid0(VALU_DEP_2) | instskip(SKIP_1) | instid1(VALU_DEP_3)
	v_div_scale_f32 v4, null, v2, v2, 0x3e8cee3d
	v_div_scale_f32 v12, vcc_lo, 0x402e6238, v3, 0x402e6238
	v_rcp_f32_e32 v6, v0
	s_delay_alu instid0(VALU_DEP_2) | instskip(NEXT) | instid1(TRANS32_DEP_2)
	v_rcp_f32_e32 v7, v4
	v_fma_f32 v8, -v0, v6, 1.0
	s_delay_alu instid0(TRANS32_DEP_1) | instskip(NEXT) | instid1(VALU_DEP_1)
	v_fma_f32 v9, -v4, v7, 1.0
	v_dual_fmac_f32 v6, v8, v6 :: v_dual_fmac_f32 v7, v9, v7
	v_div_scale_f32 v8, s0, 0x3e8cee3d, v2, 0x3e8cee3d
	s_delay_alu instid0(VALU_DEP_1) | instskip(NEXT) | instid1(VALU_DEP_1)
	v_mul_f32_e32 v13, v8, v7
	v_fma_f32 v17, -v4, v13, v8
	s_delay_alu instid0(VALU_DEP_1) | instskip(NEXT) | instid1(VALU_DEP_1)
	v_dual_mul_f32 v9, v12, v6 :: v_dual_fmac_f32 v13, v17, v7
	v_fma_f32 v16, -v0, v9, v12
	s_delay_alu instid0(VALU_DEP_2) | instskip(NEXT) | instid1(VALU_DEP_2)
	v_fma_f32 v4, -v4, v13, v8
	v_fmac_f32_e32 v9, v16, v6
                                        ; implicit-def: $vgpr8
	s_delay_alu instid0(VALU_DEP_1) | instskip(NEXT) | instid1(VALU_DEP_1)
	v_fma_f32 v0, -v0, v9, v12
	v_div_fmas_f32 v0, v0, v6, v9
	s_mov_b32 vcc_lo, s0
	v_div_fmas_f32 v4, v4, v7, v13
	s_delay_alu instid0(VALU_DEP_2) | instskip(NEXT) | instid1(VALU_DEP_2)
	v_div_fixup_f32 v3, v0, v3, 0x402e6238
	v_div_fixup_f32 v2, v4, v2, 0x3e8cee3d
.LBB0_102:
	s_and_not1_saveexec_b32 s12, s1
	s_cbranch_execz .LBB0_104
; %bb.103:
	v_mov_b64_e32 v[2:3], 0xc02e6238be8cee3d
	s_mov_b32 s1, 0x408efe8f
	s_delay_alu instid0(VALU_DEP_1) | instskip(NEXT) | instid1(VALU_DEP_1)
	v_pk_add_f32 v[2:3], v[8:9], v[2:3] op_sel_hi:[0,1]
	v_div_scale_f32 v9, null, v2, v2, 0x3e8cee3d
	s_delay_alu instid0(VALU_DEP_2) | instskip(SKIP_1) | instid1(VALU_DEP_3)
	v_div_scale_f32 v4, null, v3, v3, 0x402e6238
	v_div_scale_f32 v21, s0, 0x3e8cee3d, v2, 0x3e8cee3d
	v_rcp_f32_e32 v17, v9
	s_delay_alu instid0(VALU_DEP_2) | instskip(SKIP_1) | instid1(TRANS32_DEP_2)
	v_rcp_f32_e32 v16, v4
	v_div_scale_f32 v20, vcc_lo, 0x402e6238, v3, 0x402e6238
	v_fma_f32 v13, -v9, v17, 1.0
	v_mul_f32_e32 v0, 0xbfb8aa3b, v8
	s_delay_alu instid0(TRANS32_DEP_1) | instskip(NEXT) | instid1(VALU_DEP_3)
	v_fma_f32 v7, -v4, v16, 1.0
	v_fmac_f32_e32 v17, v13, v17
	s_delay_alu instid0(VALU_DEP_3) | instskip(SKIP_1) | instid1(VALU_DEP_2)
	v_rndne_f32_e32 v12, v0
	v_fma_f32 v6, 0xbfb8aa3b, v8, -v0
	v_dual_mul_f32 v98, v21, v17 :: v_dual_sub_f32 v0, v0, v12
	v_fmac_f32_e32 v16, v7, v16
	v_cvt_i32_f32_e32 v100, v12
	v_mov_b64_e32 v[12:13], 0x42a220e4412eca38
	s_delay_alu instid0(VALU_DEP_3) | instskip(NEXT) | instid1(VALU_DEP_1)
	v_dual_fma_f32 v101, -v9, v98, v21 :: v_dual_mul_f32 v97, v20, v16
	v_fmac_f32_e32 v98, v101, v17
	s_delay_alu instid0(VALU_DEP_2) | instskip(NEXT) | instid1(VALU_DEP_1)
	v_fma_f32 v99, -v4, v97, v20
	v_dual_fmamk_f32 v6, v8, 0xb2a5705f, v6 :: v_dual_fmac_f32 v97, v99, v16
	s_delay_alu instid0(VALU_DEP_1) | instskip(SKIP_2) | instid1(VALU_DEP_4)
	v_dual_add_f32 v0, v0, v6 :: v_dual_fmaak_f32 v99, s1, v8, 0xc29bd9a2
	v_cmp_nlt_f32_e64 s1, 0x42ce8ed0, v8
	v_mov_b64_e32 v[6:7], 0xc1149fe8bf6102b1
	v_fma_f32 v4, -v4, v97, v20
	s_delay_alu instid0(VALU_DEP_4) | instskip(SKIP_1) | instid1(VALU_DEP_2)
	v_exp_f32_e32 v0, v0
	v_fma_f32 v9, -v9, v98, v21
	v_div_fmas_f32 v4, v4, v16, v97
	s_mov_b32 vcc_lo, s0
	s_delay_alu instid0(TRANS32_DEP_1) | instskip(NEXT) | instid1(VALU_DEP_3)
	v_ldexp_f32 v0, v0, v100
	v_div_fmas_f32 v9, v9, v17, v98
	v_cmp_ngt_f32_e32 vcc_lo, 0xc2b17218, v8
	v_div_fixup_f32 v3, v4, v3, 0x402e6238
	s_delay_alu instid0(VALU_DEP_4) | instskip(NEXT) | instid1(VALU_DEP_4)
	v_cndmask_b32_e64 v0, 0, v0, s1
	v_pk_fma_f32 v[6:7], v[8:9], v[6:7], v[12:13] op_sel_hi:[0,1,1]
	v_div_fixup_f32 v2, v9, v2, 0x3e8cee3d
	s_delay_alu instid0(VALU_DEP_3) | instskip(NEXT) | instid1(VALU_DEP_1)
	v_cndmask_b32_e32 v0, 0x7f800000, v0, vcc_lo
	v_fmac_f32_e32 v5, v0, v99
	s_delay_alu instid0(VALU_DEP_3) | instskip(NEXT) | instid1(VALU_DEP_2)
	v_pk_fma_f32 v[2:3], v[0:1], v[6:7], v[2:3] op_sel_hi:[0,1,1]
	v_sub_f32_e32 v1, v1, v5
.LBB0_104:
	s_or_b32 exec_lo, exec_lo, s12
	v_dual_mov_b32 v7, 0 :: v_dual_mov_b32 v12, 0
.LBB0_105:
	s_or_b32 exec_lo, exec_lo, s2
                                        ; implicit-def: $vgpr8
.LBB0_106:
	s_and_not1_saveexec_b32 s0, s11
	s_cbranch_execz .LBB0_110
; %bb.107:
	v_mov_b64_e32 v[2:3], 0
	s_mov_b32 s1, exec_lo
	v_cmpx_eq_u32_e32 0, v32
	s_cbranch_execz .LBB0_109
; %bb.108:
	v_add_f32_e32 v0, -0.5, v8
	s_delay_alu instid0(VALU_DEP_1) | instskip(NEXT) | instid1(VALU_DEP_1)
	v_div_scale_f32 v2, null, v0, v0, 0.5
	v_rcp_f32_e32 v3, v2
	v_nop
	s_delay_alu instid0(TRANS32_DEP_1) | instskip(NEXT) | instid1(VALU_DEP_1)
	v_fma_f32 v4, -v2, v3, 1.0
	v_fmac_f32_e32 v3, v4, v3
	v_div_scale_f32 v5, vcc_lo, 0.5, v0, 0.5
	s_delay_alu instid0(VALU_DEP_1) | instskip(NEXT) | instid1(VALU_DEP_1)
	v_mul_f32_e32 v4, v5, v3
	v_fma_f32 v6, -v2, v4, v5
	s_delay_alu instid0(VALU_DEP_1) | instskip(NEXT) | instid1(VALU_DEP_1)
	v_fmac_f32_e32 v4, v6, v3
	v_fma_f32 v2, -v2, v4, v5
	s_delay_alu instid0(VALU_DEP_1) | instskip(SKIP_1) | instid1(VALU_DEP_2)
	v_div_fmas_f32 v2, v2, v3, v4
	v_mov_b32_e32 v3, 0
	v_div_fixup_f32 v2, v2, v0, 0.5
.LBB0_109:
	s_or_b32 exec_lo, exec_lo, s1
	v_dual_mov_b32 v5, 0 :: v_dual_mov_b32 v7, 0
	v_mov_b32_e32 v12, 0
.LBB0_110:
	s_or_b32 exec_lo, exec_lo, s0
                                        ; implicit-def: $vgpr8
.LBB0_111:
	s_and_not1_saveexec_b32 s10, s10
	s_cbranch_execz .LBB0_129
; %bb.112:
	v_div_scale_f32 v0, null, v8, v8, 0x3e48f136
	v_div_scale_f32 v3, vcc_lo, 0x3e48f136, v8, 0x3e48f136
	s_delay_alu instid0(VALU_DEP_2) | instskip(SKIP_1) | instid1(TRANS32_DEP_1)
	v_rcp_f32_e32 v1, v0
	v_nop
	v_fma_f32 v2, -v0, v1, 1.0
	s_delay_alu instid0(VALU_DEP_1) | instskip(NEXT) | instid1(VALU_DEP_1)
	v_fmac_f32_e32 v1, v2, v1
	v_mul_f32_e32 v2, v3, v1
	s_delay_alu instid0(VALU_DEP_1) | instskip(NEXT) | instid1(VALU_DEP_1)
	v_fma_f32 v4, -v0, v2, v3
	v_fmac_f32_e32 v2, v4, v1
	s_delay_alu instid0(VALU_DEP_1) | instskip(NEXT) | instid1(VALU_DEP_1)
	v_fma_f32 v0, -v0, v2, v3
	v_div_fmas_f32 v0, v0, v1, v2
	v_div_scale_f32 v2, null, v8, v8, 0x3f490fdb
	s_delay_alu instid0(VALU_DEP_2) | instskip(NEXT) | instid1(VALU_DEP_2)
	v_div_fixup_f32 v0, v0, v8, 0x3e48f136
	v_rcp_f32_e32 v4, v2
	s_delay_alu instid0(VALU_DEP_1) | instskip(NEXT) | instid1(TRANS32_DEP_1)
	v_add_f32_e32 v0, 0xbefe708c, v0
	v_fma_f32 v6, -v2, v4, 1.0
	s_delay_alu instid0(VALU_DEP_2) | instskip(SKIP_1) | instid1(VALU_DEP_3)
	v_div_scale_f32 v1, null, v8, v8, v0
	v_div_scale_f32 v7, vcc_lo, v0, v8, v0
	v_fmac_f32_e32 v4, v6, v4
	s_delay_alu instid0(VALU_DEP_3) | instskip(SKIP_1) | instid1(TRANS32_DEP_1)
	v_rcp_f32_e32 v3, v1
	v_nop
	v_fma_f32 v5, -v1, v3, 1.0
	s_delay_alu instid0(VALU_DEP_1) | instskip(SKIP_1) | instid1(VALU_DEP_2)
	v_fmac_f32_e32 v3, v5, v3
	v_div_scale_f32 v5, s0, 0x3f490fdb, v8, 0x3f490fdb
	v_mul_f32_e32 v6, v7, v3
	s_delay_alu instid0(VALU_DEP_1) | instskip(NEXT) | instid1(VALU_DEP_1)
	v_fma_f32 v12, -v1, v6, v7
	v_dual_mul_f32 v9, v5, v4 :: v_dual_fmac_f32 v6, v12, v3
	s_delay_alu instid0(VALU_DEP_1) | instskip(NEXT) | instid1(VALU_DEP_1)
	v_fma_f32 v13, -v2, v9, v5
	v_fmac_f32_e32 v9, v13, v4
	s_delay_alu instid0(VALU_DEP_1) | instskip(NEXT) | instid1(VALU_DEP_1)
	v_dual_fma_f32 v1, -v1, v6, v7 :: v_dual_fma_f32 v2, -v2, v9, v5
	v_div_fmas_f32 v1, v1, v3, v6
	s_mov_b32 vcc_lo, s0
	s_delay_alu instid0(VALU_DEP_2) | instskip(NEXT) | instid1(VALU_DEP_1)
	v_div_fmas_f32 v2, v2, v4, v9
	v_div_fixup_f32 v2, v2, v8, 0x3f490fdb
	s_delay_alu instid0(VALU_DEP_1) | instskip(SKIP_1) | instid1(VALU_DEP_2)
	v_mul_f32_e32 v3, 0x4f800000, v2
	v_cmp_gt_f32_e32 vcc_lo, 0xf800000, v2
	v_cndmask_b32_e32 v2, v2, v3, vcc_lo
	v_mul_f32_e32 v4, 0xbfb8aa3b, v8
	s_delay_alu instid0(VALU_DEP_2) | instskip(NEXT) | instid1(VALU_DEP_1)
	v_sqrt_f32_e32 v5, v2
	v_rndne_f32_e32 v3, v4
	v_fma_f32 v6, 0xbfb8aa3b, v8, -v4
	s_delay_alu instid0(TRANS32_DEP_1) | instid1(VALU_DEP_1)
	v_dual_fmamk_f32 v6, v8, 0xb2a5705f, v6 :: v_dual_add_nc_u32 v7, -1, v5
	s_delay_alu instid0(VALU_DEP_3) | instskip(SKIP_2) | instid1(VALU_DEP_3)
	v_sub_f32_e32 v4, v4, v3
	v_div_fixup_f32 v0, v1, v8, v0
	v_cvt_i32_f32_e32 v3, v3
	v_dual_fma_f32 v9, -v7, v5, v2 :: v_dual_add_f32 v4, v4, v6
	v_add_nc_u32_e32 v6, 1, v5
	s_delay_alu instid0(VALU_DEP_4) | instskip(NEXT) | instid1(VALU_DEP_3)
	v_add_f32_e32 v0, 0xb87c50a3, v0
	v_cmp_ge_f32_e64 s0, 0, v9
	s_delay_alu instid0(VALU_DEP_3) | instskip(SKIP_1) | instid1(VALU_DEP_2)
	v_fma_f32 v12, -v6, v5, v2
	v_exp_f32_e32 v4, v4
	v_cndmask_b32_e64 v5, v5, v7, s0
	s_delay_alu instid0(VALU_DEP_2) | instskip(NEXT) | instid1(TRANS32_DEP_1)
	v_cmp_lt_f32_e64 s0, 0, v12
                                        ; implicit-def: $vgpr12
	v_ldexp_f32 v3, v4, v3
	s_delay_alu instid0(VALU_DEP_2) | instskip(SKIP_1) | instid1(VALU_DEP_1)
	v_cndmask_b32_e64 v5, v5, v6, s0
	v_cmp_nlt_f32_e64 s0, 0x42ce8ed0, v8
	v_dual_add_f32 v6, v8, v8 :: v_dual_cndmask_b32 v3, 0, v3, s0
	s_delay_alu instid0(VALU_DEP_3) | instskip(SKIP_1) | instid1(VALU_DEP_1)
	v_mul_f32_e32 v4, 0x37800000, v5
	s_mov_b32 s0, exec_lo
	v_cndmask_b32_e32 v1, v5, v4, vcc_lo
	v_cmp_ngt_f32_e32 vcc_lo, 0xc2b17218, v8
	v_cndmask_b32_e32 v4, 0x7f800000, v3, vcc_lo
	v_cmp_class_f32_e64 vcc_lo, v2, 0x260
	s_delay_alu instid0(VALU_DEP_4) | instskip(NEXT) | instid1(VALU_DEP_1)
	v_cndmask_b32_e32 v1, v1, v2, vcc_lo
	v_fmac_f32_e32 v1, v4, v0
	s_delay_alu instid0(VALU_DEP_1) | instskip(NEXT) | instid1(VALU_DEP_1)
	v_sub_f32_e32 v0, v1, v4
	v_div_scale_f32 v2, null, v6, v6, v0
	v_div_scale_f32 v7, vcc_lo, v0, v6, v0
	s_delay_alu instid0(VALU_DEP_2) | instskip(SKIP_1) | instid1(TRANS32_DEP_1)
	v_rcp_f32_e32 v3, v2
	v_nop
	v_fma_f32 v5, -v2, v3, 1.0
	s_delay_alu instid0(VALU_DEP_1) | instskip(NEXT) | instid1(VALU_DEP_1)
	v_fmac_f32_e32 v3, v5, v3
	v_mul_f32_e32 v5, v7, v3
	s_delay_alu instid0(VALU_DEP_1) | instskip(NEXT) | instid1(VALU_DEP_1)
	v_fma_f32 v9, -v2, v5, v7
	v_fmac_f32_e32 v5, v9, v3
	s_delay_alu instid0(VALU_DEP_1) | instskip(NEXT) | instid1(VALU_DEP_1)
	v_fma_f32 v2, -v2, v5, v7
                                        ; implicit-def: $vgpr7
	v_div_fmas_f32 v2, v2, v3, v5
                                        ; implicit-def: $vgpr5
	s_delay_alu instid0(VALU_DEP_1)
	v_div_fixup_f32 v0, v2, v6, v0
                                        ; implicit-def: $vgpr2_vgpr3
	v_cmpx_lt_i32_e32 0, v32
	s_xor_b32 s11, exec_lo, s0
	s_cbranch_execz .LBB0_124
; %bb.113:
                                        ; implicit-def: $vgpr5
                                        ; implicit-def: $vgpr2_vgpr3
                                        ; implicit-def: $vgpr7
                                        ; implicit-def: $vgpr12
	s_mov_b32 s0, exec_lo
	v_cmpx_lt_i32_e32 1, v32
	s_xor_b32 s12, exec_lo, s0
	s_cbranch_execz .LBB0_121
; %bb.114:
	v_mov_b64_e32 v[2:3], 0
	v_dual_mov_b32 v5, 0 :: v_dual_mov_b32 v7, 0
	v_mov_b32_e32 v12, 0
	s_mov_b32 s13, exec_lo
	v_cmpx_eq_u32_e32 2, v32
	s_cbranch_execz .LBB0_120
; %bb.115:
                                        ; implicit-def: $vgpr2_vgpr3
                                        ; implicit-def: $vgpr5
	s_mov_b32 s0, exec_lo
	v_cmpx_ngt_f32_e32 0x41a00000, v8
	s_xor_b32 s14, exec_lo, s0
	s_cbranch_execz .LBB0_117
; %bb.116:
	v_div_scale_f32 v5, null, v8, v8, 0xc5c528bb
	v_mov_b64_e32 v[2:3], 0xbfe46a42be42ba39
	v_div_scale_f32 v20, vcc_lo, 0xc5c528bb, v8, 0xc5c528bb
	s_delay_alu instid0(VALU_DEP_3) | instskip(SKIP_3) | instid1(TRANS32_DEP_1)
	v_rcp_f32_e32 v9, v5
	v_div_scale_f32 v7, null, v8, v8, 0xc4251610
	v_div_scale_f32 v21, s0, 0xc4251610, v8, 0xc4251610
	v_div_scale_f32 v102, null, v8, v8, 0xc663b5e1
	v_fma_f32 v12, -v5, v9, 1.0
	v_pk_add_f32 v[2:3], v[8:9], v[2:3] op_sel_hi:[0,1]
	v_rcp_f32_e32 v97, v7
	v_mov_b64_e32 v[16:17], 0xbf047292bd4d2e47
	s_delay_alu instid0(VALU_DEP_3) | instskip(NEXT) | instid1(VALU_DEP_3)
	v_fmac_f32_e32 v9, v12, v9
	v_div_scale_f32 v100, null, v3, v3, 0x3fe46a42
	v_div_scale_f32 v113, null, v2, v2, 0x3e42ba39
	s_delay_alu instid0(VALU_DEP_3) | instskip(NEXT) | instid1(VALU_DEP_3)
	v_mul_f32_e32 v98, v20, v9
	v_rcp_f32_e32 v101, v100
	v_fma_f32 v13, -v7, v97, 1.0
	s_delay_alu instid0(VALU_DEP_2) | instskip(NEXT) | instid1(TRANS32_DEP_1)
	v_fma_f32 v103, -v5, v98, v20
	v_fma_f32 v114, -v100, v101, 1.0
	s_delay_alu instid0(VALU_DEP_2) | instskip(SKIP_1) | instid1(VALU_DEP_3)
	v_fmac_f32_e32 v98, v103, v9
	v_div_scale_f32 v103, s1, 0x3fe46a42, v3, 0x3fe46a42
	v_fmac_f32_e32 v101, v114, v101
	v_rcp_f32_e32 v114, v102
	s_delay_alu instid0(VALU_DEP_1) | instskip(NEXT) | instid1(VALU_DEP_1)
	v_dual_fma_f32 v5, -v5, v98, v20 :: v_dual_mul_f32 v115, v103, v101
	v_div_fmas_f32 v5, v5, v9, v98
	s_delay_alu instid0(TRANS32_DEP_1) | instskip(SKIP_3) | instid1(VALU_DEP_2)
	v_fma_f32 v98, -v102, v114, 1.0
	v_fmac_f32_e32 v97, v13, v97
	s_mov_b32 vcc_lo, s0
	v_mov_b64_e32 v[12:13], 0xbb92df54ba026eca
	v_dual_fmac_f32 v114, v98, v114 :: v_dual_mul_f32 v99, v21, v97
	s_delay_alu instid0(VALU_DEP_1) | instskip(NEXT) | instid1(VALU_DEP_1)
	v_fma_f32 v112, -v7, v99, v21
	v_fmac_f32_e32 v99, v112, v97
	v_rcp_f32_e32 v112, v113
	v_nop
	s_delay_alu instid0(TRANS32_DEP_1) | instskip(NEXT) | instid1(VALU_DEP_1)
	v_fma_f32 v9, -v113, v112, 1.0
	v_fmac_f32_e32 v112, v9, v112
	v_div_scale_f32 v9, s2, 0xc663b5e1, v8, 0xc663b5e1
	v_fma_f32 v7, -v7, v99, v21
	v_mov_b64_e32 v[20:21], 0x4135e7dc3fa7ce91
	s_delay_alu instid0(VALU_DEP_3) | instskip(SKIP_1) | instid1(VALU_DEP_4)
	v_mul_f32_e32 v117, v9, v114
	v_pk_fma_f32 v[12:13], v[8:9], v[12:13], v[16:17] op_sel_hi:[0,1,1]
	v_div_fmas_f32 v7, v7, v97, v99
	v_div_fixup_f32 v99, v5, v8, 0xc5c528bb
	v_div_scale_f32 v5, s0, 0x3e42ba39, v2, 0x3e42ba39
	s_delay_alu instid0(VALU_DEP_4) | instskip(NEXT) | instid1(VALU_DEP_4)
	v_pk_fma_f32 v[12:13], v[8:9], v[12:13], v[20:21] op_sel_hi:[0,1,1]
	v_div_fixup_f32 v98, v7, v8, 0xc4251610
	v_mov_b64_e32 v[16:17], 0xc3256d28c196ab4c
	s_delay_alu instid0(VALU_DEP_4) | instskip(SKIP_2) | instid1(VALU_DEP_1)
	v_mul_f32_e32 v116, v5, v112
	s_mov_b32 vcc_lo, s1
	s_mov_b32 s1, 0xbc62b400
	v_dual_fma_f32 v7, -v113, v116, v5 :: v_dual_fma_f32 v97, -v100, v115, v103
	s_delay_alu instid0(VALU_DEP_3) | instskip(SKIP_1) | instid1(VALU_DEP_3)
	v_pk_fma_f32 v[12:13], v[8:9], v[12:13], v[16:17] op_sel_hi:[0,1,1]
	v_mov_b64_e32 v[16:17], 0x44be4a2a4324ee74
	v_dual_fmac_f32 v116, v7, v112 :: v_dual_fmac_f32 v115, v97, v101
	v_fma_f32 v20, -v102, v117, v9
	s_delay_alu instid0(VALU_DEP_2) | instskip(NEXT) | instid1(VALU_DEP_2)
	v_dual_fma_f32 v5, -v113, v116, v5 :: v_dual_fma_f32 v21, -v100, v115, v103
	v_dual_fmac_f32 v117, v20, v114 :: v_dual_fmaak_f32 v20, s1, v8, 0xbfe2ef83
	s_delay_alu instid0(VALU_DEP_2) | instskip(NEXT) | instid1(VALU_DEP_2)
	v_div_fmas_f32 v7, v21, v101, v115
	v_fma_f32 v9, -v102, v117, v9
	s_mov_b32 vcc_lo, s0
	s_delay_alu instid0(VALU_DEP_3)
	v_fmaak_f32 v20, v8, v20, 0x418ae947
	v_div_fmas_f32 v5, v5, v112, v116
	s_mov_b32 vcc_lo, s2
	v_div_fixup_f32 v3, v7, v3, 0x3fe46a42
	v_div_fmas_f32 v9, v9, v114, v117
	v_fmaak_f32 v20, v8, v20, 0xc3b2cebc
	v_div_fixup_f32 v2, v5, v2, 0x3e42ba39
	s_delay_alu instid0(VALU_DEP_3) | instskip(SKIP_1) | instid1(VALU_DEP_2)
	v_pk_fma_f32 v[12:13], v[8:9], v[12:13], v[98:99] op_sel_hi:[0,1,1]
	v_div_fixup_f32 v9, v9, v8, 0xc663b5e1
	v_pk_add_f32 v[12:13], v[12:13], v[16:17]
	s_delay_alu instid0(VALU_DEP_2) | instskip(NEXT) | instid1(VALU_DEP_2)
	v_fmac_f32_e32 v9, v8, v20
	v_pk_fma_f32 v[2:3], v[4:5], v[12:13], v[2:3] op_sel_hi:[0,1,1]
	s_delay_alu instid0(VALU_DEP_2)
	v_add_f32_e32 v5, 0x4528a517, v9
.LBB0_117:
	s_and_not1_saveexec_b32 s0, s14
	s_cbranch_execz .LBB0_119
; %bb.118:
	s_mov_b32 s1, 0xb62341a3
	v_mov_b32_e32 v13, 0x3989b133
	v_fmaak_f32 v12, s1, v8, 0x39bba4b6
	v_mov_b32_e32 v16, 0xbcbfc8ef
	v_mov_b32_e32 v5, 0x3d0f0702
	v_mov_b64_e32 v[2:3], 0xbfe46a42be42ba39
	s_mov_b32 s1, 0x38c36ca9
	s_delay_alu instid0(VALU_DEP_3) | instskip(NEXT) | instid1(VALU_DEP_3)
	v_pk_fma_f32 v[16:17], v[8:9], v[12:13], v[16:17]
	v_pk_fma_f32 v[12:13], v[8:9], v[12:13], v[4:5] op_sel_hi:[0,1,1] neg_lo:[1,0,0] neg_hi:[1,0,0]
	v_div_scale_f32 v5, null, v8, v8, 0xca32054d
	s_delay_alu instid0(VALU_DEP_4) | instskip(NEXT) | instid1(VALU_DEP_3)
	v_pk_add_f32 v[2:3], v[8:9], v[2:3] op_sel_hi:[0,1]
	v_mov_b32_e32 v17, v13
	s_delay_alu instid0(VALU_DEP_3) | instskip(SKIP_1) | instid1(TRANS32_DEP_1)
	v_rcp_f32_e32 v7, v5
	v_nop
	v_fma_f32 v9, -v5, v7, 1.0
	s_delay_alu instid0(VALU_DEP_1) | instskip(SKIP_1) | instid1(VALU_DEP_1)
	v_fmac_f32_e32 v7, v9, v7
	v_div_scale_f32 v9, vcc_lo, 0xca32054d, v8, 0xca32054d
	v_mul_f32_e32 v12, v9, v7
	s_delay_alu instid0(VALU_DEP_1) | instskip(NEXT) | instid1(VALU_DEP_1)
	v_fma_f32 v13, -v5, v12, v9
	v_fmac_f32_e32 v12, v13, v7
	s_delay_alu instid0(VALU_DEP_1) | instskip(NEXT) | instid1(VALU_DEP_1)
	v_fma_f32 v5, -v5, v12, v9
	v_div_fmas_f32 v5, v5, v7, v12
	v_mov_b64_e32 v[12:13], 0xc045f9e03f480b7a
	s_delay_alu instid0(VALU_DEP_2) | instskip(NEXT) | instid1(VALU_DEP_2)
	v_div_fixup_f32 v5, v5, v8, 0xca32054d
	v_pk_fma_f32 v[12:13], v[8:9], v[16:17], v[12:13] op_sel_hi:[0,1,1]
	v_mov_b64_e32 v[16:17], 0x42d61304c18a913f
	s_delay_alu instid0(VALU_DEP_3) | instskip(NEXT) | instid1(VALU_DEP_1)
	v_add_f32_e32 v5, 0x49ac46f8, v5
	v_div_scale_f32 v7, null, v8, v8, v5
	s_delay_alu instid0(VALU_DEP_3) | instskip(SKIP_1) | instid1(VALU_DEP_1)
	v_pk_fma_f32 v[12:13], v[8:9], v[12:13], v[16:17] op_sel_hi:[0,1,1]
	v_mov_b64_e32 v[16:17], 0xc513e98b43738477
	v_pk_fma_f32 v[12:13], v[8:9], v[12:13], v[16:17] op_sel_hi:[0,1,1]
	s_delay_alu instid0(VALU_DEP_4) | instskip(SKIP_1) | instid1(TRANS32_DEP_1)
	v_rcp_f32_e32 v9, v7
	v_nop
	v_fma_f32 v16, -v7, v9, 1.0
	s_delay_alu instid0(VALU_DEP_1) | instskip(SKIP_1) | instid1(VALU_DEP_1)
	v_fmac_f32_e32 v9, v16, v9
	v_div_scale_f32 v16, vcc_lo, v5, v8, v5
	v_mul_f32_e32 v17, v16, v9
	s_delay_alu instid0(VALU_DEP_1) | instskip(NEXT) | instid1(VALU_DEP_1)
	v_fma_f32 v20, -v7, v17, v16
	v_fmac_f32_e32 v17, v20, v9
	s_delay_alu instid0(VALU_DEP_1) | instskip(NEXT) | instid1(VALU_DEP_1)
	v_fma_f32 v7, -v7, v17, v16
	v_div_fmas_f32 v7, v7, v9, v17
	s_delay_alu instid0(VALU_DEP_1) | instskip(SKIP_1) | instid1(VALU_DEP_1)
	v_div_fixup_f32 v17, v7, v8, v5
	v_div_scale_f32 v5, null, v8, v8, 0x469a624f
	v_rcp_f32_e32 v7, v5
	v_nop
	s_delay_alu instid0(TRANS32_DEP_1) | instskip(NEXT) | instid1(VALU_DEP_1)
	v_fma_f32 v9, -v5, v7, 1.0
	v_fmac_f32_e32 v7, v9, v7
	v_div_scale_f32 v9, vcc_lo, 0x469a624f, v8, 0x469a624f
	s_delay_alu instid0(VALU_DEP_1) | instskip(NEXT) | instid1(VALU_DEP_1)
	v_mul_f32_e32 v16, v9, v7
	v_fma_f32 v20, -v5, v16, v9
	s_delay_alu instid0(VALU_DEP_1) | instskip(SKIP_1) | instid1(VALU_DEP_2)
	v_fmac_f32_e32 v16, v20, v7
	v_mov_b32_e32 v20, 0x461981a8
	v_fma_f32 v5, -v5, v16, v9
	s_delay_alu instid0(VALU_DEP_1) | instskip(NEXT) | instid1(VALU_DEP_1)
	v_div_fmas_f32 v5, v5, v7, v16
	v_div_fixup_f32 v16, v5, v8, 0x469a624f
	v_mov_b32_e32 v5, 0xc88e598b
	s_delay_alu instid0(VALU_DEP_2) | instskip(NEXT) | instid1(VALU_DEP_2)
	v_pk_add_f32 v[20:21], v[16:17], v[20:21] neg_lo:[1,0] neg_hi:[1,0]
	v_pk_add_f32 v[16:17], v[16:17], v[4:5]
	s_delay_alu instid0(VALU_DEP_1) | instskip(NEXT) | instid1(VALU_DEP_1)
	v_div_scale_f32 v5, null, v8, v8, v17
	v_rcp_f32_e32 v7, v5
	v_nop
	s_delay_alu instid0(TRANS32_DEP_1) | instskip(NEXT) | instid1(VALU_DEP_1)
	v_fma_f32 v9, -v5, v7, 1.0
	v_fmac_f32_e32 v7, v9, v7
	v_div_scale_f32 v9, vcc_lo, v17, v8, v17
	s_delay_alu instid0(VALU_DEP_1) | instskip(NEXT) | instid1(VALU_DEP_1)
	v_mul_f32_e32 v16, v9, v7
	v_fma_f32 v21, -v5, v16, v9
	s_delay_alu instid0(VALU_DEP_1) | instskip(NEXT) | instid1(VALU_DEP_1)
	v_fmac_f32_e32 v16, v21, v7
	v_fma_f32 v5, -v5, v16, v9
	s_delay_alu instid0(VALU_DEP_1) | instskip(NEXT) | instid1(VALU_DEP_1)
	v_div_fmas_f32 v5, v5, v7, v16
	v_div_fixup_f32 v17, v5, v8, v17
	v_div_scale_f32 v5, null, v8, v8, v20
	s_delay_alu instid0(VALU_DEP_1) | instskip(SKIP_1) | instid1(TRANS32_DEP_1)
	v_rcp_f32_e32 v7, v5
	v_nop
	v_fma_f32 v9, -v5, v7, 1.0
	s_delay_alu instid0(VALU_DEP_1) | instskip(SKIP_1) | instid1(VALU_DEP_1)
	v_fmac_f32_e32 v7, v9, v7
	v_div_scale_f32 v9, vcc_lo, v20, v8, v20
	v_mul_f32_e32 v16, v9, v7
	s_delay_alu instid0(VALU_DEP_1) | instskip(NEXT) | instid1(VALU_DEP_1)
	v_fma_f32 v21, -v5, v16, v9
	v_fmac_f32_e32 v16, v21, v7
	s_delay_alu instid0(VALU_DEP_1) | instskip(NEXT) | instid1(VALU_DEP_1)
	v_fma_f32 v5, -v5, v16, v9
	v_div_fmas_f32 v5, v5, v7, v16
	s_delay_alu instid0(VALU_DEP_1) | instskip(SKIP_1) | instid1(VALU_DEP_2)
	v_div_fixup_f32 v16, v5, v8, v20
	v_div_scale_f32 v5, null, v3, v3, 0x3fe46a42
	v_pk_fma_f32 v[12:13], v[8:9], v[12:13], v[16:17] op_sel_hi:[0,1,1]
	s_delay_alu instid0(VALU_DEP_2) | instskip(SKIP_1) | instid1(TRANS32_DEP_1)
	v_rcp_f32_e32 v7, v5
	v_mov_b64_e32 v[16:17], 0x4702f04ac501fb4f
	v_fma_f32 v9, -v5, v7, 1.0
	s_delay_alu instid0(VALU_DEP_2) | instskip(NEXT) | instid1(VALU_DEP_2)
	v_pk_add_f32 v[12:13], v[12:13], v[16:17]
	v_fmac_f32_e32 v7, v9, v7
	v_div_scale_f32 v9, vcc_lo, 0x3fe46a42, v3, 0x3fe46a42
	s_delay_alu instid0(VALU_DEP_1) | instskip(NEXT) | instid1(VALU_DEP_1)
	v_mul_f32_e32 v16, v9, v7
	v_fma_f32 v17, -v5, v16, v9
	s_delay_alu instid0(VALU_DEP_1) | instskip(NEXT) | instid1(VALU_DEP_1)
	v_fmac_f32_e32 v16, v17, v7
	v_fma_f32 v5, -v5, v16, v9
	s_delay_alu instid0(VALU_DEP_1) | instskip(NEXT) | instid1(VALU_DEP_1)
	v_div_fmas_f32 v5, v5, v7, v16
	v_div_fixup_f32 v3, v5, v3, 0x3fe46a42
	v_div_scale_f32 v5, null, v2, v2, 0x3e42ba39
	s_delay_alu instid0(VALU_DEP_1) | instskip(SKIP_1) | instid1(TRANS32_DEP_1)
	v_rcp_f32_e32 v7, v5
	v_nop
	v_fma_f32 v9, -v5, v7, 1.0
	s_delay_alu instid0(VALU_DEP_1) | instskip(SKIP_1) | instid1(VALU_DEP_1)
	v_fmac_f32_e32 v7, v9, v7
	v_div_scale_f32 v9, vcc_lo, 0x3e42ba39, v2, 0x3e42ba39
	v_mul_f32_e32 v16, v9, v7
	s_delay_alu instid0(VALU_DEP_1) | instskip(NEXT) | instid1(VALU_DEP_1)
	v_fma_f32 v17, -v5, v16, v9
	v_fmac_f32_e32 v16, v17, v7
	s_delay_alu instid0(VALU_DEP_1) | instskip(NEXT) | instid1(VALU_DEP_1)
	v_fma_f32 v5, -v5, v16, v9
	v_div_fmas_f32 v5, v5, v7, v16
	v_div_scale_f32 v7, null, v8, v8, 0xc8396161
	s_delay_alu instid0(VALU_DEP_2) | instskip(NEXT) | instid1(VALU_DEP_2)
	v_div_fixup_f32 v2, v5, v2, 0x3e42ba39
	v_rcp_f32_e32 v9, v7
	s_delay_alu instid0(VALU_DEP_1) | instskip(SKIP_1) | instid1(TRANS32_DEP_1)
	v_pk_fma_f32 v[2:3], v[4:5], v[12:13], v[2:3] op_sel_hi:[0,1,1]
	v_fmaak_f32 v5, s1, v8, 0xbceb226e
	v_fma_f32 v12, -v7, v9, 1.0
	s_delay_alu instid0(VALU_DEP_2) | instskip(NEXT) | instid1(VALU_DEP_2)
	v_fmaak_f32 v5, v8, v5, 0xbf4893b3
	v_fmac_f32_e32 v9, v12, v9
	v_div_scale_f32 v12, vcc_lo, 0xc8396161, v8, 0xc8396161
	s_delay_alu instid0(VALU_DEP_3) | instskip(NEXT) | instid1(VALU_DEP_2)
	v_fmaak_f32 v5, v8, v5, 0xc193789b
	v_mul_f32_e32 v13, v12, v9
	s_delay_alu instid0(VALU_DEP_2) | instskip(NEXT) | instid1(VALU_DEP_2)
	v_fmaak_f32 v5, v8, v5, 0x43ca7f94
	v_fma_f32 v16, -v7, v13, v12
	s_delay_alu instid0(VALU_DEP_1) | instskip(NEXT) | instid1(VALU_DEP_1)
	v_fmac_f32_e32 v13, v16, v9
	v_fma_f32 v7, -v7, v13, v12
	s_delay_alu instid0(VALU_DEP_1) | instskip(NEXT) | instid1(VALU_DEP_1)
	v_div_fmas_f32 v7, v7, v9, v13
	v_div_fixup_f32 v7, v7, v8, 0xc8396161
	s_delay_alu instid0(VALU_DEP_1) | instskip(NEXT) | instid1(VALU_DEP_1)
	v_add_f32_e32 v7, 0x4747cdd7, v7
	v_div_scale_f32 v9, null, v8, v8, v7
	s_delay_alu instid0(VALU_DEP_1) | instskip(SKIP_1) | instid1(TRANS32_DEP_1)
	v_rcp_f32_e32 v12, v9
	v_nop
	v_fma_f32 v13, -v9, v12, 1.0
	s_delay_alu instid0(VALU_DEP_1) | instskip(SKIP_1) | instid1(VALU_DEP_1)
	v_fmac_f32_e32 v12, v13, v12
	v_div_scale_f32 v13, vcc_lo, v7, v8, v7
	v_mul_f32_e32 v16, v13, v12
	s_delay_alu instid0(VALU_DEP_1) | instskip(NEXT) | instid1(VALU_DEP_1)
	v_fma_f32 v17, -v9, v16, v13
	v_fmac_f32_e32 v16, v17, v12
	s_delay_alu instid0(VALU_DEP_1) | instskip(NEXT) | instid1(VALU_DEP_1)
	v_fma_f32 v9, -v9, v16, v13
	v_div_fmas_f32 v9, v9, v12, v16
	s_delay_alu instid0(VALU_DEP_1) | instskip(NEXT) | instid1(VALU_DEP_1)
	v_div_fixup_f32 v7, v9, v8, v7
	v_fmac_f32_e32 v7, v8, v5
	s_delay_alu instid0(VALU_DEP_1)
	v_add_f32_e32 v5, 0xc5d70baa, v7
.LBB0_119:
	s_or_b32 exec_lo, exec_lo, s0
	v_fma_f32 v7, 2.0, v0, v0
	s_delay_alu instid0(VALU_DEP_1) | instskip(SKIP_1) | instid1(VALU_DEP_2)
	v_sub_f32_e32 v13, v7, v4
	v_add_f32_e32 v7, 0xc0b0cf9e, v8
	v_div_scale_f32 v8, null, v6, v6, v13
	s_delay_alu instid0(VALU_DEP_2) | instskip(NEXT) | instid1(VALU_DEP_2)
	v_div_scale_f32 v9, null, v7, v7, 0x40b0cf9e
	v_rcp_f32_e32 v12, v8
	s_delay_alu instid0(VALU_DEP_1) | instskip(NEXT) | instid1(TRANS32_DEP_2)
	v_rcp_f32_e32 v16, v9
	v_fma_f32 v17, -v8, v12, 1.0
	s_delay_alu instid0(TRANS32_DEP_1) | instskip(NEXT) | instid1(VALU_DEP_2)
	v_fma_f32 v20, -v9, v16, 1.0
	v_fmac_f32_e32 v12, v17, v12
	v_div_scale_f32 v17, s0, 0x40b0cf9e, v7, 0x40b0cf9e
	s_delay_alu instid0(VALU_DEP_3) | instskip(NEXT) | instid1(VALU_DEP_1)
	v_fmac_f32_e32 v16, v20, v16
	v_mul_f32_e32 v97, v17, v16
	s_delay_alu instid0(VALU_DEP_1) | instskip(NEXT) | instid1(VALU_DEP_1)
	v_fma_f32 v99, -v9, v97, v17
	v_fmac_f32_e32 v97, v99, v16
	s_delay_alu instid0(VALU_DEP_1) | instskip(SKIP_1) | instid1(VALU_DEP_1)
	v_fma_f32 v9, -v9, v97, v17
	v_div_scale_f32 v21, vcc_lo, v13, v6, v13
	v_mul_f32_e32 v20, v21, v12
	s_delay_alu instid0(VALU_DEP_1) | instskip(NEXT) | instid1(VALU_DEP_1)
	v_fma_f32 v98, -v8, v20, v21
	v_fmac_f32_e32 v20, v98, v12
	s_delay_alu instid0(VALU_DEP_1) | instskip(NEXT) | instid1(VALU_DEP_1)
	v_fma_f32 v8, -v8, v20, v21
	v_div_fmas_f32 v20, v8, v12, v20
	s_mov_b32 vcc_lo, s0
	v_div_fmas_f32 v8, v9, v16, v97
	s_delay_alu instid0(VALU_DEP_2) | instskip(NEXT) | instid1(VALU_DEP_2)
	v_div_fixup_f32 v6, v20, v6, v13
	v_div_fixup_f32 v12, v8, v7, 0x40b0cf9e
	s_delay_alu instid0(VALU_DEP_1) | instskip(SKIP_1) | instid1(VALU_DEP_2)
	v_fmac_f32_e32 v12, v4, v5
	v_pk_add_f32 v[4:5], v[2:3], 1.0 op_sel_hi:[1,0]
	v_add_f32_e32 v7, 1.0, v12
	s_delay_alu instid0(VALU_DEP_2) | instskip(NEXT) | instid1(VALU_DEP_3)
	v_div_scale_f32 v8, null, v5, v5, v3
	v_div_scale_f32 v16, null, v4, v4, v2
	s_delay_alu instid0(VALU_DEP_3) | instskip(NEXT) | instid1(VALU_DEP_3)
	v_div_scale_f32 v9, null, v7, v7, v12
	v_rcp_f32_e32 v21, v8
	s_delay_alu instid0(VALU_DEP_2) | instskip(SKIP_1) | instid1(VALU_DEP_2)
	v_rcp_f32_e32 v97, v16
	v_div_scale_f32 v103, vcc_lo, v12, v7, v12
	v_rcp_f32_e32 v17, v9
	v_div_scale_f32 v98, s0, v3, v5, v3
	s_delay_alu instid0(TRANS32_DEP_3) | instskip(NEXT) | instid1(TRANS32_DEP_2)
	v_fma_f32 v101, -v8, v21, 1.0
	v_fma_f32 v102, -v16, v97, 1.0
	v_div_scale_f32 v99, s1, v2, v4, v2
	s_delay_alu instid0(TRANS32_DEP_1) | instskip(NEXT) | instid1(VALU_DEP_4)
	v_fma_f32 v100, -v9, v17, 1.0
	v_fmac_f32_e32 v21, v101, v21
	s_delay_alu instid0(VALU_DEP_2) | instskip(NEXT) | instid1(VALU_DEP_2)
	v_fmac_f32_e32 v17, v100, v17
	v_mul_f32_e32 v101, v98, v21
	s_delay_alu instid0(VALU_DEP_2) | instskip(SKIP_1) | instid1(VALU_DEP_2)
	v_mul_f32_e32 v100, v103, v17
	v_fmac_f32_e32 v97, v102, v97
	v_dual_fma_f32 v113, -v8, v101, v98 :: v_dual_fma_f32 v112, -v9, v100, v103
	s_delay_alu instid0(VALU_DEP_1) | instskip(NEXT) | instid1(VALU_DEP_2)
	v_fmac_f32_e32 v101, v113, v21
	v_fmac_f32_e32 v100, v112, v17
	s_delay_alu instid0(VALU_DEP_4) | instskip(NEXT) | instid1(VALU_DEP_2)
	v_mul_f32_e32 v102, v99, v97
	v_dual_fma_f32 v8, -v8, v101, v98 :: v_dual_fma_f32 v9, -v9, v100, v103
	s_delay_alu instid0(VALU_DEP_2) | instskip(NEXT) | instid1(VALU_DEP_2)
	v_fma_f32 v114, -v16, v102, v99
	v_div_fmas_f32 v9, v9, v17, v100
	s_delay_alu instid0(VALU_DEP_2) | instskip(SKIP_2) | instid1(VALU_DEP_3)
	v_fmac_f32_e32 v102, v114, v97
	s_mov_b32 vcc_lo, s0
	v_div_fmas_f32 v17, v8, v21, v101
	v_div_fixup_f32 v8, v9, v7, v12
	v_mov_b32_e32 v7, v0
	v_fma_f32 v16, -v16, v102, v99
	s_mov_b32 vcc_lo, s1
	v_div_fixup_f32 v5, v17, v5, v3
	s_delay_alu instid0(VALU_DEP_2) | instskip(NEXT) | instid1(VALU_DEP_1)
	v_div_fmas_f32 v16, v16, v97, v102
	v_div_fixup_f32 v4, v16, v4, v2
	s_delay_alu instid0(VALU_DEP_1) | instskip(SKIP_2) | instid1(VALU_DEP_3)
	v_pk_add_f32 v[16:17], v[8:9], v[4:5] op_sel_hi:[0,1] neg_lo:[0,1] neg_hi:[0,1]
	v_mov_b32_e32 v9, v4
	v_pk_fma_f32 v[6:7], v[0:1], v[4:5], v[6:7] op_sel_hi:[1,0,1] neg_lo:[1,0,0] neg_hi:[1,0,0]
	v_mov_b32_e32 v13, v16
	s_delay_alu instid0(VALU_DEP_3) | instskip(NEXT) | instid1(VALU_DEP_3)
	v_pk_add_f32 v[20:21], v[4:5], v[8:9] neg_lo:[0,1] neg_hi:[0,1]
	v_pk_mul_f32 v[4:5], v[4:5], v[6:7]
	s_delay_alu instid0(VALU_DEP_3) | instskip(NEXT) | instid1(VALU_DEP_3)
	v_pk_mul_f32 v[98:99], v[16:17], v[12:13]
	v_dual_mov_b32 v9, v21 :: v_dual_mov_b32 v16, v7
	s_delay_alu instid0(VALU_DEP_1) | instskip(NEXT) | instid1(VALU_DEP_4)
	v_pk_mul_f32 v[8:9], v[8:9], v[16:17]
	v_dual_mov_b32 v17, v6 :: v_dual_mov_b32 v7, v5
	s_delay_alu instid0(VALU_DEP_2) | instskip(NEXT) | instid1(VALU_DEP_1)
	v_mov_b32_e32 v16, v8
	v_pk_add_f32 v[6:7], v[16:17], v[6:7] neg_lo:[0,1] neg_hi:[0,1]
	s_delay_alu instid0(VALU_DEP_1) | instskip(NEXT) | instid1(VALU_DEP_2)
	v_div_scale_f32 v0, null, v99, v99, v7
	v_div_scale_f32 v4, null, v9, v9, v6
	v_div_scale_f32 v17, vcc_lo, v7, v99, v7
	s_delay_alu instid0(VALU_DEP_3) | instskip(NEXT) | instid1(VALU_DEP_2)
	v_rcp_f32_e32 v5, v0
	v_rcp_f32_e32 v8, v4
	s_delay_alu instid0(TRANS32_DEP_2) | instskip(NEXT) | instid1(TRANS32_DEP_1)
	v_fma_f32 v13, -v0, v5, 1.0
	v_fma_f32 v16, -v4, v8, 1.0
	s_delay_alu instid0(VALU_DEP_1) | instskip(SKIP_1) | instid1(VALU_DEP_1)
	v_dual_fmac_f32 v5, v13, v5 :: v_dual_fmac_f32 v8, v16, v8
	v_div_scale_f32 v13, s0, v6, v9, v6
	v_mul_f32_e32 v20, v13, v8
	s_delay_alu instid0(VALU_DEP_1) | instskip(NEXT) | instid1(VALU_DEP_1)
	v_dual_mul_f32 v16, v17, v5 :: v_dual_fma_f32 v97, -v4, v20, v13
	v_fma_f32 v21, -v0, v16, v17
	s_delay_alu instid0(VALU_DEP_2) | instskip(NEXT) | instid1(VALU_DEP_1)
	v_fmac_f32_e32 v20, v97, v8
	v_dual_fmac_f32 v16, v21, v5 :: v_dual_fma_f32 v4, -v4, v20, v13
	s_delay_alu instid0(VALU_DEP_1) | instskip(NEXT) | instid1(VALU_DEP_1)
	v_fma_f32 v0, -v0, v16, v17
	v_div_fmas_f32 v0, v0, v5, v16
	s_mov_b32 vcc_lo, s0
	s_delay_alu instid0(VALU_DEP_3) | instskip(NEXT) | instid1(VALU_DEP_2)
	v_div_fmas_f32 v4, v4, v8, v20
	v_div_fixup_f32 v7, v0, v99, v7
	s_delay_alu instid0(VALU_DEP_2) | instskip(NEXT) | instid1(VALU_DEP_1)
	v_div_fixup_f32 v5, v4, v9, v6
	v_sub_f32_e32 v0, v1, v5
	s_delay_alu instid0(VALU_DEP_1)
	v_sub_f32_e32 v1, v0, v7
.LBB0_120:
	s_or_b32 exec_lo, exec_lo, s13
                                        ; implicit-def: $vgpr8
                                        ; implicit-def: $vgpr4
.LBB0_121:
	s_and_not1_saveexec_b32 s0, s12
	s_cbranch_execz .LBB0_123
; %bb.122:
	v_div_scale_f32 v2, null, v8, v8, 0xc307d4bd
	s_mov_b32 s1, 0xb59a3989
	v_mov_b64_e32 v[16:17], 0xbdc708fbbc8ce3aa
	v_rcp_f32_e32 v3, v2
	v_nop
	s_delay_alu instid0(TRANS32_DEP_1) | instskip(NEXT) | instid1(VALU_DEP_1)
	v_fma_f32 v5, -v2, v3, 1.0
	v_dual_fmaak_f32 v6, s1, v8, 0x39388d8e :: v_dual_fmac_f32 v3, v5, v3
	v_div_scale_f32 v5, vcc_lo, 0xc307d4bd, v8, 0xc307d4bd
	s_delay_alu instid0(VALU_DEP_1) | instskip(NEXT) | instid1(VALU_DEP_1)
	v_mul_f32_e32 v7, v5, v3
	v_fma_f32 v9, -v2, v7, v5
	s_delay_alu instid0(VALU_DEP_1) | instskip(NEXT) | instid1(VALU_DEP_1)
	v_fmac_f32_e32 v7, v9, v3
	v_fma_f32 v2, -v2, v7, v5
	s_delay_alu instid0(VALU_DEP_1) | instskip(NEXT) | instid1(VALU_DEP_1)
	v_div_fmas_f32 v2, v2, v3, v7
	v_div_fixup_f32 v13, v2, v8, 0xc307d4bd
	v_div_scale_f32 v2, null, v8, v8, 0xc23e4bfd
	s_delay_alu instid0(VALU_DEP_1) | instskip(SKIP_1) | instid1(TRANS32_DEP_1)
	v_rcp_f32_e32 v3, v2
	v_nop
	v_fma_f32 v5, -v2, v3, 1.0
	s_delay_alu instid0(VALU_DEP_1) | instskip(SKIP_1) | instid1(VALU_DEP_1)
	v_fmac_f32_e32 v3, v5, v3
	v_div_scale_f32 v5, vcc_lo, 0xc23e4bfd, v8, 0xc23e4bfd
	v_mul_f32_e32 v7, v5, v3
	s_delay_alu instid0(VALU_DEP_1) | instskip(NEXT) | instid1(VALU_DEP_1)
	v_fma_f32 v9, -v2, v7, v5
	v_fmac_f32_e32 v7, v9, v3
	s_delay_alu instid0(VALU_DEP_1) | instskip(NEXT) | instid1(VALU_DEP_1)
	v_fma_f32 v2, -v2, v7, v5
	v_div_fmas_f32 v2, v2, v3, v7
	v_mov_b32_e32 v7, 0x39bf52f4
	s_delay_alu instid0(VALU_DEP_2) | instskip(NEXT) | instid1(VALU_DEP_2)
	v_div_fixup_f32 v12, v2, v8, 0xc23e4bfd
	v_pk_fma_f32 v[6:7], v[8:9], v[6:7], v[16:17] op_sel_hi:[0,1,1]
	v_mov_b64_e32 v[16:17], 0xc080ec6fbe0c9671
	v_mov_b64_e32 v[2:3], 0xc02e6238be8cee3d
	s_delay_alu instid0(VALU_DEP_2) | instskip(SKIP_1) | instid1(VALU_DEP_3)
	v_pk_fma_f32 v[6:7], v[8:9], v[6:7], v[16:17] op_sel_hi:[0,1,1]
	v_mov_b64_e32 v[16:17], 0xc2ad60db41135c5f
	v_pk_add_f32 v[2:3], v[8:9], v[2:3] op_sel_hi:[0,1]
	s_delay_alu instid0(VALU_DEP_2) | instskip(NEXT) | instid1(VALU_DEP_1)
	v_pk_add_f32 v[12:13], v[12:13], v[16:17]
	v_div_scale_f32 v5, null, v8, v8, v13
	s_delay_alu instid0(VALU_DEP_1) | instskip(SKIP_1) | instid1(TRANS32_DEP_1)
	v_rcp_f32_e32 v9, v5
	v_nop
	v_fma_f32 v16, -v5, v9, 1.0
	s_delay_alu instid0(VALU_DEP_1) | instskip(SKIP_1) | instid1(VALU_DEP_1)
	v_fmac_f32_e32 v9, v16, v9
	v_div_scale_f32 v16, vcc_lo, v13, v8, v13
	v_mul_f32_e32 v17, v16, v9
	s_delay_alu instid0(VALU_DEP_1) | instskip(NEXT) | instid1(VALU_DEP_1)
	v_fma_f32 v20, -v5, v17, v16
	v_fmac_f32_e32 v17, v20, v9
	s_delay_alu instid0(VALU_DEP_1) | instskip(NEXT) | instid1(VALU_DEP_1)
	v_fma_f32 v5, -v5, v17, v16
	v_div_fmas_f32 v5, v5, v9, v17
	s_delay_alu instid0(VALU_DEP_1) | instskip(SKIP_1) | instid1(VALU_DEP_1)
	v_div_fixup_f32 v13, v5, v8, v13
	v_div_scale_f32 v5, null, v8, v8, v12
	v_rcp_f32_e32 v9, v5
	v_nop
	s_delay_alu instid0(TRANS32_DEP_1) | instskip(NEXT) | instid1(VALU_DEP_1)
	v_fma_f32 v16, -v5, v9, 1.0
	v_fmac_f32_e32 v9, v16, v9
	v_div_scale_f32 v16, vcc_lo, v12, v8, v12
	s_delay_alu instid0(VALU_DEP_1) | instskip(NEXT) | instid1(VALU_DEP_1)
	v_mul_f32_e32 v17, v16, v9
	v_fma_f32 v20, -v5, v17, v16
	s_delay_alu instid0(VALU_DEP_1) | instskip(NEXT) | instid1(VALU_DEP_1)
	v_fmac_f32_e32 v17, v20, v9
	v_fma_f32 v5, -v5, v17, v16
	s_delay_alu instid0(VALU_DEP_1) | instskip(NEXT) | instid1(VALU_DEP_1)
	v_div_fmas_f32 v5, v5, v9, v17
	v_div_fixup_f32 v12, v5, v8, v12
	v_div_scale_f32 v5, null, v3, v3, 0x402e6238
	s_delay_alu instid0(VALU_DEP_2) | instskip(SKIP_1) | instid1(VALU_DEP_1)
	v_pk_fma_f32 v[6:7], v[8:9], v[6:7], v[12:13] op_sel_hi:[0,1,1]
	v_mov_b64_e32 v[8:9], 0x403eba2bbcbd4d2c
	v_pk_add_f32 v[6:7], v[6:7], v[8:9]
	s_delay_alu instid0(VALU_DEP_4) | instskip(SKIP_1) | instid1(TRANS32_DEP_1)
	v_rcp_f32_e32 v8, v5
	v_nop
	v_fma_f32 v9, -v5, v8, 1.0
	s_delay_alu instid0(VALU_DEP_1) | instskip(SKIP_1) | instid1(VALU_DEP_1)
	v_fmac_f32_e32 v8, v9, v8
	v_div_scale_f32 v9, vcc_lo, 0x402e6238, v3, 0x402e6238
	v_mul_f32_e32 v12, v9, v8
	s_delay_alu instid0(VALU_DEP_1) | instskip(NEXT) | instid1(VALU_DEP_1)
	v_fma_f32 v13, -v5, v12, v9
	v_fmac_f32_e32 v12, v13, v8
	s_delay_alu instid0(VALU_DEP_1) | instskip(NEXT) | instid1(VALU_DEP_1)
	v_fma_f32 v5, -v5, v12, v9
	v_div_fmas_f32 v5, v5, v8, v12
	s_delay_alu instid0(VALU_DEP_1) | instskip(SKIP_1) | instid1(VALU_DEP_1)
	v_div_fixup_f32 v3, v5, v3, 0x402e6238
	v_div_scale_f32 v5, null, v2, v2, 0x3e8cee3d
	v_rcp_f32_e32 v8, v5
	v_nop
	s_delay_alu instid0(TRANS32_DEP_1) | instskip(NEXT) | instid1(VALU_DEP_1)
	v_fma_f32 v9, -v5, v8, 1.0
	v_fmac_f32_e32 v8, v9, v8
	v_div_scale_f32 v9, vcc_lo, 0x3e8cee3d, v2, 0x3e8cee3d
	s_delay_alu instid0(VALU_DEP_1) | instskip(NEXT) | instid1(VALU_DEP_1)
	v_mul_f32_e32 v12, v9, v8
	v_fma_f32 v13, -v5, v12, v9
	s_delay_alu instid0(VALU_DEP_1) | instskip(NEXT) | instid1(VALU_DEP_1)
	v_fmac_f32_e32 v12, v13, v8
	v_fma_f32 v5, -v5, v12, v9
	s_delay_alu instid0(VALU_DEP_1) | instskip(SKIP_1) | instid1(VALU_DEP_2)
	v_div_fmas_f32 v5, v5, v8, v12
	v_mov_b32_e32 v12, 0
	v_div_fixup_f32 v2, v5, v2, 0x3e8cee3d
	s_delay_alu instid0(VALU_DEP_1) | instskip(SKIP_1) | instid1(VALU_DEP_1)
	v_pk_fma_f32 v[2:3], v[4:5], v[6:7], v[2:3] op_sel_hi:[0,1,1]
	v_sub_f32_e32 v4, v0, v1
	v_dual_fmac_f32 v0, v4, v2 :: v_dual_add_f32 v4, 1.0, v3
	s_delay_alu instid0(VALU_DEP_1) | instskip(NEXT) | instid1(VALU_DEP_1)
	v_dual_mul_f32 v0, v4, v0 :: v_dual_sub_f32 v4, v3, v2
	v_div_scale_f32 v5, null, v4, v4, v0
	s_delay_alu instid0(VALU_DEP_1) | instskip(SKIP_1) | instid1(TRANS32_DEP_1)
	v_rcp_f32_e32 v6, v5
	v_nop
	v_fma_f32 v7, -v5, v6, 1.0
	s_delay_alu instid0(VALU_DEP_1) | instskip(SKIP_1) | instid1(VALU_DEP_1)
	v_fmac_f32_e32 v6, v7, v6
	v_div_scale_f32 v7, vcc_lo, v0, v4, v0
	v_mul_f32_e32 v8, v7, v6
	s_delay_alu instid0(VALU_DEP_1) | instskip(NEXT) | instid1(VALU_DEP_1)
	v_fma_f32 v9, -v5, v8, v7
	v_fmac_f32_e32 v8, v9, v6
	s_delay_alu instid0(VALU_DEP_1) | instskip(NEXT) | instid1(VALU_DEP_1)
	v_dual_fma_f32 v5, -v5, v8, v7 :: v_dual_mov_b32 v7, 0
	v_div_fmas_f32 v5, v5, v6, v8
	s_delay_alu instid0(VALU_DEP_1) | instskip(NEXT) | instid1(VALU_DEP_1)
	v_div_fixup_f32 v5, v5, v4, v0
	v_sub_f32_e32 v1, v1, v5
.LBB0_123:
	s_or_b32 exec_lo, exec_lo, s0
.LBB0_124:
	s_and_not1_saveexec_b32 s0, s11
	s_cbranch_execz .LBB0_128
; %bb.125:
	v_mov_b64_e32 v[2:3], 0
	s_mov_b32 s1, exec_lo
	v_cmpx_eq_u32_e32 0, v32
	s_cbranch_execz .LBB0_127
; %bb.126:
	v_sub_f32_e32 v2, v1, v0
	s_delay_alu instid0(VALU_DEP_1) | instskip(SKIP_1) | instid1(VALU_DEP_2)
	v_div_scale_f32 v3, null, v2, v2, v0
	v_div_scale_f32 v6, vcc_lo, v0, v2, v0
	v_rcp_f32_e32 v4, v3
	v_nop
	s_delay_alu instid0(TRANS32_DEP_1) | instskip(NEXT) | instid1(VALU_DEP_1)
	v_fma_f32 v5, -v3, v4, 1.0
	v_fmac_f32_e32 v4, v5, v4
	s_delay_alu instid0(VALU_DEP_1) | instskip(NEXT) | instid1(VALU_DEP_1)
	v_mul_f32_e32 v5, v6, v4
	v_fma_f32 v7, -v3, v5, v6
	s_delay_alu instid0(VALU_DEP_1) | instskip(NEXT) | instid1(VALU_DEP_1)
	v_fmac_f32_e32 v5, v7, v4
	v_fma_f32 v3, -v3, v5, v6
	s_delay_alu instid0(VALU_DEP_1) | instskip(NEXT) | instid1(VALU_DEP_1)
	v_div_fmas_f32 v3, v3, v4, v5
	v_div_fixup_f32 v2, v3, v2, v0
	v_mov_b32_e32 v3, 0
.LBB0_127:
	s_or_b32 exec_lo, exec_lo, s1
	v_dual_mov_b32 v5, 0 :: v_dual_mov_b32 v7, 0
	v_mov_b32_e32 v12, 0
.LBB0_128:
	s_or_b32 exec_lo, exec_lo, s0
.LBB0_129:
	s_delay_alu instid0(SALU_CYCLE_1)
	s_or_b32 exec_lo, exec_lo, s10
                                        ; implicit-def: $vgpr8
.LBB0_130:
	s_and_not1_saveexec_b32 s9, s9
	s_cbranch_execz .LBB0_144
; %bb.131:
	v_div_scale_f32 v0, null, v8, v8, 0xbe405aee
	v_div_scale_f32 v3, vcc_lo, 0xbe405aee, v8, 0xbe405aee
	s_delay_alu instid0(VALU_DEP_2) | instskip(SKIP_1) | instid1(TRANS32_DEP_1)
	v_rcp_f32_e32 v1, v0
	v_nop
	v_fma_f32 v2, -v0, v1, 1.0
	s_delay_alu instid0(VALU_DEP_1) | instskip(NEXT) | instid1(VALU_DEP_1)
	v_fmac_f32_e32 v1, v2, v1
	v_mul_f32_e32 v2, v3, v1
	s_delay_alu instid0(VALU_DEP_1) | instskip(NEXT) | instid1(VALU_DEP_1)
	v_fma_f32 v4, -v0, v2, v3
	v_fmac_f32_e32 v2, v4, v1
	s_delay_alu instid0(VALU_DEP_1) | instskip(NEXT) | instid1(VALU_DEP_1)
	v_fma_f32 v0, -v0, v2, v3
	v_div_fmas_f32 v0, v0, v1, v2
	s_delay_alu instid0(VALU_DEP_1) | instskip(NEXT) | instid1(VALU_DEP_1)
	v_div_fixup_f32 v0, v0, v8, 0xbe405aee
	v_add_f32_e32 v0, 0x3e6b6fc1, v0
	s_delay_alu instid0(VALU_DEP_1) | instskip(SKIP_1) | instid1(VALU_DEP_2)
	v_div_scale_f32 v1, null, v8, v8, v0
	v_div_scale_f32 v4, vcc_lo, v0, v8, v0
	v_rcp_f32_e32 v2, v1
	v_nop
	s_delay_alu instid0(TRANS32_DEP_1) | instskip(NEXT) | instid1(VALU_DEP_1)
	v_fma_f32 v3, -v1, v2, 1.0
	v_fmac_f32_e32 v2, v3, v2
	s_delay_alu instid0(VALU_DEP_1) | instskip(NEXT) | instid1(VALU_DEP_1)
	v_mul_f32_e32 v3, v4, v2
	v_fma_f32 v5, -v1, v3, v4
	s_delay_alu instid0(VALU_DEP_1) | instskip(NEXT) | instid1(VALU_DEP_1)
	v_fmac_f32_e32 v3, v5, v2
	v_fma_f32 v1, -v1, v3, v4
	s_delay_alu instid0(VALU_DEP_1) | instskip(SKIP_1) | instid1(VALU_DEP_2)
	v_div_fmas_f32 v1, v1, v2, v3
	v_div_scale_f32 v2, null, v8, v8, 0x3f490fdb
	v_div_fixup_f32 v0, v1, v8, v0
	s_delay_alu instid0(VALU_DEP_2) | instskip(NEXT) | instid1(VALU_DEP_1)
	v_rcp_f32_e32 v4, v2
	v_add_f32_e32 v0, 0xbeff74bd, v0
	s_delay_alu instid0(TRANS32_DEP_1) | instskip(NEXT) | instid1(VALU_DEP_2)
	v_fma_f32 v6, -v2, v4, 1.0
	v_div_scale_f32 v1, null, v8, v8, v0
	v_div_scale_f32 v7, vcc_lo, v0, v8, v0
	s_delay_alu instid0(VALU_DEP_3) | instskip(NEXT) | instid1(VALU_DEP_3)
	v_fmac_f32_e32 v4, v6, v4
	v_rcp_f32_e32 v3, v1
	v_nop
	s_delay_alu instid0(TRANS32_DEP_1) | instskip(NEXT) | instid1(VALU_DEP_1)
	v_fma_f32 v5, -v1, v3, 1.0
	v_fmac_f32_e32 v3, v5, v3
	v_div_scale_f32 v5, s0, 0x3f490fdb, v8, 0x3f490fdb
	s_delay_alu instid0(VALU_DEP_1) | instskip(NEXT) | instid1(VALU_DEP_1)
	v_dual_mul_f32 v6, v7, v3 :: v_dual_mul_f32 v9, v5, v4
	v_dual_fma_f32 v12, -v1, v6, v7 :: v_dual_fma_f32 v13, -v2, v9, v5
	s_delay_alu instid0(VALU_DEP_1) | instskip(NEXT) | instid1(VALU_DEP_1)
	v_dual_fmac_f32 v6, v12, v3 :: v_dual_fmac_f32 v9, v13, v4
	v_dual_fma_f32 v1, -v1, v6, v7 :: v_dual_fma_f32 v2, -v2, v9, v5
	s_delay_alu instid0(VALU_DEP_1) | instskip(SKIP_1) | instid1(VALU_DEP_2)
	v_div_fmas_f32 v1, v1, v3, v6
	s_mov_b32 vcc_lo, s0
	v_div_fmas_f32 v2, v2, v4, v9
	s_delay_alu instid0(VALU_DEP_2) | instskip(NEXT) | instid1(VALU_DEP_2)
	v_div_fixup_f32 v1, v1, v8, v0
	v_div_fixup_f32 v2, v2, v8, 0x3f490fdb
	s_delay_alu instid0(VALU_DEP_1) | instskip(SKIP_1) | instid1(VALU_DEP_2)
	v_mul_f32_e32 v3, 0x4f800000, v2
	v_cmp_gt_f32_e32 vcc_lo, 0xf800000, v2
	v_cndmask_b32_e32 v2, v2, v3, vcc_lo
	s_delay_alu instid0(VALU_DEP_1) | instskip(SKIP_1) | instid1(TRANS32_DEP_1)
	v_sqrt_f32_e32 v5, v2
	v_nop
	v_dual_mul_f32 v4, 0xbfb8aa3b, v8 :: v_dual_add_nc_u32 v7, -1, v5
	s_delay_alu instid0(VALU_DEP_1) | instskip(SKIP_1) | instid1(VALU_DEP_2)
	v_rndne_f32_e32 v3, v4
	v_fma_f32 v6, 0xbfb8aa3b, v8, -v4
	v_sub_f32_e32 v4, v4, v3
	s_delay_alu instid0(VALU_DEP_2) | instskip(SKIP_2) | instid1(VALU_DEP_3)
	v_fmamk_f32 v6, v8, 0xb2a5705f, v6
	v_fma_f32 v9, -v7, v5, v2
	v_cvt_i32_f32_e32 v3, v3
	v_dual_add_f32 v4, v4, v6 :: v_dual_add_nc_u32 v6, 1, v5
	s_delay_alu instid0(VALU_DEP_3) | instskip(NEXT) | instid1(VALU_DEP_2)
	v_cmp_ge_f32_e64 s0, 0, v9
	v_exp_f32_e32 v4, v4
	s_delay_alu instid0(VALU_DEP_1) | instskip(NEXT) | instid1(VALU_DEP_1)
	v_dual_fma_f32 v12, -v6, v5, v2 :: v_dual_cndmask_b32 v5, v5, v7, s0
	v_cmp_lt_f32_e64 s0, 0, v12
	s_delay_alu instid0(TRANS32_DEP_1) | instskip(NEXT) | instid1(VALU_DEP_2)
	v_ldexp_f32 v3, v4, v3
                                        ; implicit-def: $vgpr12
	v_cndmask_b32_e64 v5, v5, v6, s0
	v_cmp_nlt_f32_e64 s0, 0x42ce8ed0, v8
	s_delay_alu instid0(VALU_DEP_1) | instskip(NEXT) | instid1(VALU_DEP_3)
	v_dual_add_f32 v6, v8, v8 :: v_dual_cndmask_b32 v3, 0, v3, s0
	v_mul_f32_e32 v4, 0x37800000, v5
	s_mov_b32 s0, exec_lo
	s_delay_alu instid0(VALU_DEP_1)
	v_cndmask_b32_e32 v4, v5, v4, vcc_lo
	v_cmp_ngt_f32_e32 vcc_lo, 0xc2b17218, v8
	v_cndmask_b32_e32 v0, 0x7f800000, v3, vcc_lo
	v_cmp_class_f32_e64 vcc_lo, v2, 0x260
	v_add_f32_e32 v3, 0xb7b7d95a, v1
	v_cndmask_b32_e32 v1, v4, v2, vcc_lo
	s_delay_alu instid0(VALU_DEP_1) | instskip(NEXT) | instid1(VALU_DEP_1)
	v_fmac_f32_e32 v1, v0, v3
	v_sub_f32_e32 v2, v1, v0
	s_delay_alu instid0(VALU_DEP_1) | instskip(SKIP_1) | instid1(VALU_DEP_2)
	v_div_scale_f32 v3, null, v6, v6, v2
	v_div_scale_f32 v7, vcc_lo, v2, v6, v2
	v_rcp_f32_e32 v4, v3
	v_nop
	s_delay_alu instid0(TRANS32_DEP_1) | instskip(NEXT) | instid1(VALU_DEP_1)
	v_fma_f32 v5, -v3, v4, 1.0
	v_fmac_f32_e32 v4, v5, v4
	s_delay_alu instid0(VALU_DEP_1) | instskip(NEXT) | instid1(VALU_DEP_1)
	v_mul_f32_e32 v5, v7, v4
	v_fma_f32 v9, -v3, v5, v7
	s_delay_alu instid0(VALU_DEP_1) | instskip(NEXT) | instid1(VALU_DEP_1)
	v_fmac_f32_e32 v5, v9, v4
	v_fma_f32 v3, -v3, v5, v7
                                        ; implicit-def: $vgpr7
	s_delay_alu instid0(VALU_DEP_1) | instskip(NEXT) | instid1(VALU_DEP_1)
	v_div_fmas_f32 v3, v3, v4, v5
                                        ; implicit-def: $vgpr5
	v_div_fixup_f32 v4, v3, v6, v2
                                        ; implicit-def: $vgpr2_vgpr3
	v_cmpx_lt_i32_e32 0, v32
	s_xor_b32 s10, exec_lo, s0
	s_cbranch_execz .LBB0_139
; %bb.132:
                                        ; implicit-def: $vgpr5
                                        ; implicit-def: $vgpr2_vgpr3
                                        ; implicit-def: $vgpr7
                                        ; implicit-def: $vgpr12
	s_mov_b32 s0, exec_lo
	v_cmpx_lt_i32_e32 1, v32
	s_xor_b32 s11, exec_lo, s0
	s_cbranch_execz .LBB0_136
; %bb.133:
	v_mov_b64_e32 v[2:3], 0
	v_dual_mov_b32 v5, 0 :: v_dual_mov_b32 v7, 0
	v_mov_b32_e32 v12, 0
	s_mov_b32 s12, exec_lo
	v_cmpx_eq_u32_e32 2, v32
	s_cbranch_execz .LBB0_135
; %bb.134:
	v_add_f32_e32 v8, 0xc1480000, v8
	v_mov_b64_e32 v[2:3], 0x27f6d9a225fedf51
	v_mov_b64_e32 v[12:13], 0xa8430508a747bc7d
	s_mov_b32 s0, 0x27670864
	v_mov_b64_e32 v[16:17], 0xab717b68a937ed9d
	v_fmaak_f32 v5, s0, v8, 0xa8f64f4f
	v_fma_f32 v7, 2.0, v4, v4
	v_mov_b64_e32 v[20:21], 0x3e290a2d3c7b638c
	v_pk_fma_f32 v[2:3], v[8:9], v[2:3], v[12:13] op_sel_hi:[0,1,1]
	s_delay_alu instid0(VALU_DEP_3) | instskip(SKIP_1) | instid1(VALU_DEP_3)
	v_dual_fmaak_f32 v5, v8, v5, 0xaab1bb1a :: v_dual_sub_f32 v0, v7, v0
	v_mov_b64_e32 v[12:13], 0x2ce9b5e52b176e28
	v_pk_fma_f32 v[2:3], v[8:9], v[2:3], v[16:17] op_sel_hi:[0,1,1]
	s_delay_alu instid0(VALU_DEP_3) | instskip(SKIP_2) | instid1(VALU_DEP_4)
	v_fmaak_f32 v5, v8, v5, 0x2d183ebc
	v_mov_b64_e32 v[16:17], 0x2e530dc32c0470c6
	v_div_scale_f32 v7, null, v6, v6, v0
	v_pk_fma_f32 v[2:3], v[8:9], v[2:3], v[12:13] op_sel_hi:[0,1,1]
	s_delay_alu instid0(VALU_DEP_4) | instskip(SKIP_1) | instid1(VALU_DEP_3)
	v_fmaak_f32 v5, v8, v5, 0xae776687
	v_mov_b64_e32 v[12:13], 0xb09bdff9aebeb7e0
	v_pk_fma_f32 v[2:3], v[8:9], v[2:3], v[16:17] op_sel_hi:[0,1,1]
	s_delay_alu instid0(VALU_DEP_3) | instskip(SKIP_1) | instid1(VALU_DEP_3)
	v_fmaak_f32 v5, v8, v5, 0xb054272a
	v_mov_b64_e32 v[16:17], 0x31f3757630438a61
	v_pk_fma_f32 v[2:3], v[8:9], v[2:3], v[12:13] op_sel_hi:[0,1,1]
	s_delay_alu instid0(VALU_DEP_3) | instskip(SKIP_1) | instid1(VALU_DEP_3)
	;; [unrolled: 4-line block ×7, first 2 shown]
	v_fmaak_f32 v5, v8, v5, 0x3c3a9de9
	v_div_scale_f32 v16, vcc_lo, v0, v6, v0
	v_pk_fma_f32 v[2:3], v[8:9], v[2:3], v[12:13] op_sel_hi:[0,1,1]
	v_rcp_f32_e32 v13, v7
	s_delay_alu instid0(VALU_DEP_3) | instskip(NEXT) | instid1(VALU_DEP_1)
	v_fmaak_f32 v5, v8, v5, 0xbdcfc4d6
	v_fmaak_f32 v12, v8, v5, 0x3f46f6d6
	s_delay_alu instid0(TRANS32_DEP_1) | instskip(NEXT) | instid1(VALU_DEP_1)
	v_fma_f32 v5, -v7, v13, 1.0
	v_dual_add_f32 v17, 1.0, v12 :: v_dual_fmac_f32 v13, v5, v13
	v_pk_fma_f32 v[2:3], v[8:9], v[2:3], v[20:21] op_sel_hi:[0,1,1]
	s_delay_alu instid0(VALU_DEP_2) | instskip(NEXT) | instid1(VALU_DEP_2)
	v_div_scale_f32 v20, null, v17, v17, v12
	v_pk_add_f32 v[8:9], v[2:3], 1.0 op_sel_hi:[1,0]
	s_delay_alu instid0(VALU_DEP_4) | instskip(NEXT) | instid1(VALU_DEP_3)
	v_mul_f32_e32 v97, v16, v13
	v_rcp_f32_e32 v99, v20
	s_delay_alu instid0(VALU_DEP_2) | instskip(NEXT) | instid1(VALU_DEP_3)
	v_div_scale_f32 v5, null, v9, v9, v3
	v_div_scale_f32 v21, null, v8, v8, v2
	v_div_scale_f32 v101, s0, v3, v9, v3
	s_delay_alu instid0(VALU_DEP_3) | instskip(NEXT) | instid1(VALU_DEP_2)
	v_rcp_f32_e32 v98, v5
	v_rcp_f32_e32 v100, v21
	s_delay_alu instid0(TRANS32_DEP_3) | instskip(SKIP_1) | instid1(TRANS32_DEP_2)
	v_fma_f32 v112, -v20, v99, 1.0
	v_div_scale_f32 v102, s1, v2, v8, v2
	v_fma_f32 v103, -v5, v98, 1.0
	s_delay_alu instid0(TRANS32_DEP_1) | instskip(NEXT) | instid1(VALU_DEP_4)
	v_fma_f32 v113, -v21, v100, 1.0
	v_fmac_f32_e32 v99, v112, v99
	v_div_scale_f32 v114, s2, v12, v17, v12
	s_delay_alu instid0(VALU_DEP_3) | instskip(NEXT) | instid1(VALU_DEP_2)
	v_dual_fmac_f32 v98, v103, v98 :: v_dual_fmac_f32 v100, v113, v100
	v_dual_fma_f32 v103, -v7, v97, v16 :: v_dual_mul_f32 v113, v114, v99
	s_delay_alu instid0(VALU_DEP_2) | instskip(NEXT) | instid1(VALU_DEP_2)
	v_dual_mul_f32 v112, v101, v98 :: v_dual_mul_f32 v115, v102, v100
	v_fmac_f32_e32 v97, v103, v13
	s_delay_alu instid0(VALU_DEP_2) | instskip(NEXT) | instid1(VALU_DEP_2)
	v_dual_fma_f32 v116, -v20, v113, v114 :: v_dual_fma_f32 v103, -v5, v112, v101
	v_dual_fma_f32 v117, -v21, v115, v102 :: v_dual_fma_f32 v7, -v7, v97, v16
	s_delay_alu instid0(VALU_DEP_2) | instskip(NEXT) | instid1(VALU_DEP_2)
	v_dual_fmac_f32 v113, v116, v99 :: v_dual_fmac_f32 v112, v103, v98
	v_fmac_f32_e32 v115, v117, v100
	s_delay_alu instid0(VALU_DEP_3) | instskip(NEXT) | instid1(VALU_DEP_3)
	v_div_fmas_f32 v7, v7, v13, v97
	v_fma_f32 v13, -v20, v113, v114
	s_mov_b32 vcc_lo, s2
	v_fma_f32 v5, -v5, v112, v101
	v_fma_f32 v16, -v21, v115, v102
	v_div_fixup_f32 v0, v7, v6, v0
	v_div_fmas_f32 v13, v13, v99, v113
	s_mov_b32 vcc_lo, s0
	v_div_fmas_f32 v5, v5, v98, v112
	s_mov_b32 vcc_lo, s1
	v_div_fmas_f32 v16, v16, v100, v115
	s_delay_alu instid0(VALU_DEP_2) | instskip(NEXT) | instid1(VALU_DEP_2)
	v_div_fixup_f32 v9, v5, v9, v3
	v_div_fixup_f32 v8, v16, v8, v2
	;; [unrolled: 1-line block ×3, first 2 shown]
	s_delay_alu instid0(VALU_DEP_3) | instskip(NEXT) | instid1(VALU_DEP_3)
	v_mov_b32_e32 v5, v9
	v_dual_mul_f32 v20, v1, v8 :: v_dual_mov_b32 v21, v8
	s_delay_alu instid0(VALU_DEP_3) | instskip(NEXT) | instid1(VALU_DEP_2)
	v_pk_add_f32 v[98:99], v[16:17], v[8:9] op_sel_hi:[0,1] neg_lo:[0,1] neg_hi:[0,1]
	v_pk_add_f32 v[20:21], v[4:5], v[20:21] neg_lo:[0,1] neg_hi:[0,1]
	s_delay_alu instid0(VALU_DEP_2) | instskip(NEXT) | instid1(VALU_DEP_2)
	v_dual_mov_b32 v17, v99 :: v_dual_mov_b32 v13, v98
	v_mov_b32_e32 v5, v20
	s_delay_alu instid0(VALU_DEP_2) | instskip(SKIP_1) | instid1(VALU_DEP_3)
	v_pk_mul_f32 v[6:7], v[20:21], v[16:17]
	v_fma_f32 v17, -v4, v8, v0
	v_pk_mul_f32 v[4:5], v[8:9], v[4:5]
	s_delay_alu instid0(VALU_DEP_2) | instskip(SKIP_1) | instid1(VALU_DEP_2)
	v_dual_mov_b32 v16, v6 :: v_dual_mov_b32 v4, v17
	v_pk_mul_f32 v[8:9], v[98:99], v[12:13]
	v_pk_add_f32 v[16:17], v[16:17], v[4:5] neg_lo:[0,1] neg_hi:[0,1]
	s_delay_alu instid0(VALU_DEP_1) | instskip(NEXT) | instid1(VALU_DEP_2)
	v_div_scale_f32 v0, null, v9, v9, v17
	v_div_scale_f32 v4, null, v7, v7, v16
	v_div_scale_f32 v20, vcc_lo, v17, v9, v17
	s_delay_alu instid0(VALU_DEP_3) | instskip(NEXT) | instid1(VALU_DEP_2)
	v_rcp_f32_e32 v5, v0
	v_rcp_f32_e32 v6, v4
	s_delay_alu instid0(TRANS32_DEP_2) | instskip(NEXT) | instid1(TRANS32_DEP_1)
	v_fma_f32 v8, -v0, v5, 1.0
	v_fma_f32 v13, -v4, v6, 1.0
	s_delay_alu instid0(VALU_DEP_1) | instskip(SKIP_1) | instid1(VALU_DEP_1)
	v_dual_fmac_f32 v6, v13, v6 :: v_dual_fmac_f32 v5, v8, v5
	v_div_scale_f32 v8, s0, v16, v7, v16
	v_mul_f32_e32 v21, v8, v6
	s_delay_alu instid0(VALU_DEP_1) | instskip(NEXT) | instid1(VALU_DEP_1)
	v_fma_f32 v98, -v4, v21, v8
	v_dual_mul_f32 v13, v20, v5 :: v_dual_fmac_f32 v21, v98, v6
	s_delay_alu instid0(VALU_DEP_1) | instskip(NEXT) | instid1(VALU_DEP_2)
	v_fma_f32 v97, -v0, v13, v20
	v_fma_f32 v4, -v4, v21, v8
	s_delay_alu instid0(VALU_DEP_2) | instskip(NEXT) | instid1(VALU_DEP_1)
	v_fmac_f32_e32 v13, v97, v5
	v_fma_f32 v0, -v0, v13, v20
	s_delay_alu instid0(VALU_DEP_1) | instskip(SKIP_2) | instid1(VALU_DEP_1)
	v_div_fmas_f32 v0, v0, v5, v13
	s_mov_b32 vcc_lo, s0
	v_div_fmas_f32 v4, v4, v6, v21
	v_div_fixup_f32 v5, v4, v7, v16
	s_delay_alu instid0(VALU_DEP_3) | instskip(NEXT) | instid1(VALU_DEP_2)
	v_div_fixup_f32 v7, v0, v9, v17
	v_sub_f32_e32 v0, v1, v5
	s_delay_alu instid0(VALU_DEP_1)
	v_sub_f32_e32 v1, v0, v7
.LBB0_135:
	s_or_b32 exec_lo, exec_lo, s12
                                        ; implicit-def: $vgpr8
                                        ; implicit-def: $vgpr0
                                        ; implicit-def: $vgpr4
.LBB0_136:
	s_and_not1_saveexec_b32 s0, s11
	s_cbranch_execz .LBB0_138
; %bb.137:
	v_div_scale_f32 v2, null, v8, v8, 0xc5024921
	s_mov_b32 s1, 0xb72984d9
	v_mov_b64_e32 v[16:17], 0xbdbf7bb1bd89fc71
	v_rcp_f32_e32 v3, v2
	v_nop
	s_delay_alu instid0(TRANS32_DEP_1) | instskip(NEXT) | instid1(VALU_DEP_1)
	v_fma_f32 v5, -v2, v3, 1.0
	v_dual_fmaak_f32 v6, s1, v8, 0x3a9c9bdc :: v_dual_fmac_f32 v3, v5, v3
	v_div_scale_f32 v5, vcc_lo, 0xc5024921, v8, 0xc5024921
	s_delay_alu instid0(VALU_DEP_1) | instskip(NEXT) | instid1(VALU_DEP_1)
	v_mul_f32_e32 v7, v5, v3
	v_fma_f32 v9, -v2, v7, v5
	s_delay_alu instid0(VALU_DEP_1) | instskip(NEXT) | instid1(VALU_DEP_1)
	v_fmac_f32_e32 v7, v9, v3
	v_fma_f32 v2, -v2, v7, v5
	s_delay_alu instid0(VALU_DEP_1) | instskip(NEXT) | instid1(VALU_DEP_1)
	v_div_fmas_f32 v2, v2, v3, v7
	v_div_fixup_f32 v13, v2, v8, 0xc5024921
	v_div_scale_f32 v2, null, v8, v8, 0xc6060060
	s_delay_alu instid0(VALU_DEP_1) | instskip(SKIP_1) | instid1(TRANS32_DEP_1)
	v_rcp_f32_e32 v3, v2
	v_nop
	v_fma_f32 v5, -v2, v3, 1.0
	s_delay_alu instid0(VALU_DEP_1) | instskip(SKIP_1) | instid1(VALU_DEP_1)
	v_fmac_f32_e32 v3, v5, v3
	v_div_scale_f32 v5, vcc_lo, 0xc6060060, v8, 0xc6060060
	v_mul_f32_e32 v7, v5, v3
	s_delay_alu instid0(VALU_DEP_1) | instskip(NEXT) | instid1(VALU_DEP_1)
	v_fma_f32 v9, -v2, v7, v5
	v_fmac_f32_e32 v7, v9, v3
	s_delay_alu instid0(VALU_DEP_1) | instskip(NEXT) | instid1(VALU_DEP_1)
	v_fma_f32 v2, -v2, v7, v5
	v_div_fmas_f32 v2, v2, v3, v7
	v_mov_b32_e32 v7, 0x39b1bf10
	s_delay_alu instid0(VALU_DEP_2) | instskip(NEXT) | instid1(VALU_DEP_2)
	v_div_fixup_f32 v12, v2, v8, 0xc6060060
	v_pk_fma_f32 v[6:7], v[8:9], v[6:7], v[16:17] op_sel_hi:[0,1,1]
	v_mov_b64_e32 v[16:17], 0xc0871bf93fa0e734
	v_mov_b64_e32 v[2:3], 0xc02e6238be8cee3d
	s_delay_alu instid0(VALU_DEP_2) | instskip(SKIP_1) | instid1(VALU_DEP_3)
	v_pk_fma_f32 v[6:7], v[8:9], v[6:7], v[16:17] op_sel_hi:[0,1,1]
	v_mov_b64_e32 v[16:17], 0xc4833fb445b8b07a
	v_pk_add_f32 v[2:3], v[8:9], v[2:3] op_sel_hi:[0,1]
	s_delay_alu instid0(VALU_DEP_2) | instskip(NEXT) | instid1(VALU_DEP_1)
	v_pk_add_f32 v[12:13], v[12:13], v[16:17]
	v_div_scale_f32 v5, null, v8, v8, v13
	s_delay_alu instid0(VALU_DEP_1) | instskip(SKIP_1) | instid1(TRANS32_DEP_1)
	v_rcp_f32_e32 v9, v5
	v_nop
	v_fma_f32 v16, -v5, v9, 1.0
	s_delay_alu instid0(VALU_DEP_1) | instskip(SKIP_1) | instid1(VALU_DEP_1)
	v_fmac_f32_e32 v9, v16, v9
	v_div_scale_f32 v16, vcc_lo, v13, v8, v13
	v_mul_f32_e32 v17, v16, v9
	s_delay_alu instid0(VALU_DEP_1) | instskip(NEXT) | instid1(VALU_DEP_1)
	v_fma_f32 v20, -v5, v17, v16
	v_fmac_f32_e32 v17, v20, v9
	s_delay_alu instid0(VALU_DEP_1) | instskip(NEXT) | instid1(VALU_DEP_1)
	v_fma_f32 v5, -v5, v17, v16
	v_div_fmas_f32 v5, v5, v9, v17
	s_delay_alu instid0(VALU_DEP_1) | instskip(SKIP_1) | instid1(VALU_DEP_1)
	v_div_fixup_f32 v13, v5, v8, v13
	v_div_scale_f32 v5, null, v8, v8, v12
	v_rcp_f32_e32 v9, v5
	v_nop
	s_delay_alu instid0(TRANS32_DEP_1) | instskip(NEXT) | instid1(VALU_DEP_1)
	v_fma_f32 v16, -v5, v9, 1.0
	v_fmac_f32_e32 v9, v16, v9
	v_div_scale_f32 v16, vcc_lo, v12, v8, v12
	s_delay_alu instid0(VALU_DEP_1) | instskip(NEXT) | instid1(VALU_DEP_1)
	v_mul_f32_e32 v17, v16, v9
	v_fma_f32 v20, -v5, v17, v16
	s_delay_alu instid0(VALU_DEP_1) | instskip(NEXT) | instid1(VALU_DEP_1)
	v_fmac_f32_e32 v17, v20, v9
	v_fma_f32 v5, -v5, v17, v16
	s_delay_alu instid0(VALU_DEP_1) | instskip(SKIP_1) | instid1(VALU_DEP_2)
	v_div_fmas_f32 v5, v5, v9, v17
	v_mov_b64_e32 v[16:17], 0x43a9f21dc4d58275
	v_div_fixup_f32 v12, v5, v8, v12
	s_delay_alu instid0(VALU_DEP_1) | instskip(NEXT) | instid1(VALU_DEP_1)
	v_pk_add_f32 v[12:13], v[12:13], v[16:17]
	v_div_scale_f32 v5, null, v8, v8, v13
	s_delay_alu instid0(VALU_DEP_1) | instskip(SKIP_1) | instid1(TRANS32_DEP_1)
	v_rcp_f32_e32 v9, v5
	v_nop
	v_fma_f32 v16, -v5, v9, 1.0
	s_delay_alu instid0(VALU_DEP_1) | instskip(SKIP_1) | instid1(VALU_DEP_1)
	v_fmac_f32_e32 v9, v16, v9
	v_div_scale_f32 v16, vcc_lo, v13, v8, v13
	v_mul_f32_e32 v17, v16, v9
	s_delay_alu instid0(VALU_DEP_1) | instskip(NEXT) | instid1(VALU_DEP_1)
	v_fma_f32 v20, -v5, v17, v16
	v_fmac_f32_e32 v17, v20, v9
	s_delay_alu instid0(VALU_DEP_1) | instskip(NEXT) | instid1(VALU_DEP_1)
	v_fma_f32 v5, -v5, v17, v16
	v_div_fmas_f32 v5, v5, v9, v17
	s_delay_alu instid0(VALU_DEP_1) | instskip(SKIP_1) | instid1(VALU_DEP_1)
	v_div_fixup_f32 v13, v5, v8, v13
	v_div_scale_f32 v5, null, v8, v8, v12
	v_rcp_f32_e32 v9, v5
	v_nop
	s_delay_alu instid0(TRANS32_DEP_1) | instskip(NEXT) | instid1(VALU_DEP_1)
	v_fma_f32 v16, -v5, v9, 1.0
	v_fmac_f32_e32 v9, v16, v9
	v_div_scale_f32 v16, vcc_lo, v12, v8, v12
	s_delay_alu instid0(VALU_DEP_1) | instskip(NEXT) | instid1(VALU_DEP_1)
	v_mul_f32_e32 v17, v16, v9
	v_fma_f32 v20, -v5, v17, v16
	s_delay_alu instid0(VALU_DEP_1) | instskip(NEXT) | instid1(VALU_DEP_1)
	v_fmac_f32_e32 v17, v20, v9
	v_fma_f32 v5, -v5, v17, v16
	s_delay_alu instid0(VALU_DEP_1) | instskip(SKIP_1) | instid1(VALU_DEP_2)
	v_div_fmas_f32 v5, v5, v9, v17
	v_mov_b64_e32 v[16:17], 0xc31c2f4f438444b2
	v_div_fixup_f32 v12, v5, v8, v12
	s_delay_alu instid0(VALU_DEP_1) | instskip(NEXT) | instid1(VALU_DEP_1)
	v_pk_add_f32 v[12:13], v[12:13], v[16:17]
	v_div_scale_f32 v5, null, v8, v8, v13
	s_delay_alu instid0(VALU_DEP_1) | instskip(SKIP_1) | instid1(TRANS32_DEP_1)
	v_rcp_f32_e32 v9, v5
	v_nop
	v_fma_f32 v16, -v5, v9, 1.0
	s_delay_alu instid0(VALU_DEP_1) | instskip(SKIP_1) | instid1(VALU_DEP_1)
	v_fmac_f32_e32 v9, v16, v9
	v_div_scale_f32 v16, vcc_lo, v13, v8, v13
	v_mul_f32_e32 v17, v16, v9
	s_delay_alu instid0(VALU_DEP_1) | instskip(NEXT) | instid1(VALU_DEP_1)
	v_fma_f32 v20, -v5, v17, v16
	v_fmac_f32_e32 v17, v20, v9
	s_delay_alu instid0(VALU_DEP_1) | instskip(NEXT) | instid1(VALU_DEP_1)
	v_fma_f32 v5, -v5, v17, v16
	v_div_fmas_f32 v5, v5, v9, v17
	s_delay_alu instid0(VALU_DEP_1) | instskip(SKIP_1) | instid1(VALU_DEP_1)
	v_div_fixup_f32 v13, v5, v8, v13
	v_div_scale_f32 v5, null, v8, v8, v12
	v_rcp_f32_e32 v9, v5
	v_nop
	s_delay_alu instid0(TRANS32_DEP_1) | instskip(NEXT) | instid1(VALU_DEP_1)
	v_fma_f32 v16, -v5, v9, 1.0
	v_fmac_f32_e32 v9, v16, v9
	v_div_scale_f32 v16, vcc_lo, v12, v8, v12
	s_delay_alu instid0(VALU_DEP_1) | instskip(NEXT) | instid1(VALU_DEP_1)
	v_mul_f32_e32 v17, v16, v9
	v_fma_f32 v20, -v5, v17, v16
	s_delay_alu instid0(VALU_DEP_1) | instskip(NEXT) | instid1(VALU_DEP_1)
	v_fmac_f32_e32 v17, v20, v9
	v_fma_f32 v5, -v5, v17, v16
	s_delay_alu instid0(VALU_DEP_1) | instskip(NEXT) | instid1(VALU_DEP_1)
	v_div_fmas_f32 v5, v5, v9, v17
	v_div_fixup_f32 v12, v5, v8, v12
	v_div_scale_f32 v5, null, v3, v3, 0x402e6238
	s_delay_alu instid0(VALU_DEP_2) | instskip(SKIP_1) | instid1(VALU_DEP_1)
	v_pk_fma_f32 v[6:7], v[8:9], v[6:7], v[12:13] op_sel_hi:[0,1,1]
	v_mov_b64_e32 v[8:9], 0x4100225ec1bedb3d
	v_pk_add_f32 v[6:7], v[6:7], v[8:9]
	s_delay_alu instid0(VALU_DEP_4) | instskip(SKIP_1) | instid1(TRANS32_DEP_1)
	v_rcp_f32_e32 v8, v5
	v_nop
	v_fma_f32 v9, -v5, v8, 1.0
	s_delay_alu instid0(VALU_DEP_1) | instskip(SKIP_1) | instid1(VALU_DEP_1)
	v_fmac_f32_e32 v8, v9, v8
	v_div_scale_f32 v9, vcc_lo, 0x402e6238, v3, 0x402e6238
	v_mul_f32_e32 v12, v9, v8
	s_delay_alu instid0(VALU_DEP_1) | instskip(NEXT) | instid1(VALU_DEP_1)
	v_fma_f32 v13, -v5, v12, v9
	v_fmac_f32_e32 v12, v13, v8
	s_delay_alu instid0(VALU_DEP_1) | instskip(NEXT) | instid1(VALU_DEP_1)
	v_fma_f32 v5, -v5, v12, v9
	v_div_fmas_f32 v5, v5, v8, v12
	s_delay_alu instid0(VALU_DEP_1) | instskip(SKIP_1) | instid1(VALU_DEP_1)
	v_div_fixup_f32 v3, v5, v3, 0x402e6238
	v_div_scale_f32 v5, null, v2, v2, 0x3e8cee3d
	v_rcp_f32_e32 v8, v5
	v_nop
	s_delay_alu instid0(TRANS32_DEP_1) | instskip(NEXT) | instid1(VALU_DEP_1)
	v_fma_f32 v9, -v5, v8, 1.0
	v_fmac_f32_e32 v8, v9, v8
	v_div_scale_f32 v9, vcc_lo, 0x3e8cee3d, v2, 0x3e8cee3d
	s_delay_alu instid0(VALU_DEP_1) | instskip(NEXT) | instid1(VALU_DEP_1)
	v_mul_f32_e32 v12, v9, v8
	v_fma_f32 v13, -v5, v12, v9
	s_delay_alu instid0(VALU_DEP_1) | instskip(NEXT) | instid1(VALU_DEP_1)
	v_fmac_f32_e32 v12, v13, v8
	v_fma_f32 v5, -v5, v12, v9
	s_delay_alu instid0(VALU_DEP_1) | instskip(SKIP_1) | instid1(VALU_DEP_2)
	v_div_fmas_f32 v5, v5, v8, v12
	v_mov_b32_e32 v12, 0
	v_div_fixup_f32 v2, v5, v2, 0x3e8cee3d
	s_delay_alu instid0(VALU_DEP_1) | instskip(SKIP_1) | instid1(VALU_DEP_1)
	v_pk_fma_f32 v[2:3], v[0:1], v[6:7], v[2:3] op_sel_hi:[0,1,1]
	v_sub_f32_e32 v0, v4, v1
	v_dual_fmac_f32 v4, v0, v2 :: v_dual_add_f32 v0, 1.0, v3
	s_delay_alu instid0(VALU_DEP_1) | instskip(NEXT) | instid1(VALU_DEP_1)
	v_dual_mul_f32 v0, v0, v4 :: v_dual_sub_f32 v4, v3, v2
	v_div_scale_f32 v5, null, v4, v4, v0
	s_delay_alu instid0(VALU_DEP_1) | instskip(SKIP_1) | instid1(TRANS32_DEP_1)
	v_rcp_f32_e32 v6, v5
	v_nop
	v_fma_f32 v7, -v5, v6, 1.0
	s_delay_alu instid0(VALU_DEP_1) | instskip(SKIP_1) | instid1(VALU_DEP_1)
	v_fmac_f32_e32 v6, v7, v6
	v_div_scale_f32 v7, vcc_lo, v0, v4, v0
	v_mul_f32_e32 v8, v7, v6
	s_delay_alu instid0(VALU_DEP_1) | instskip(NEXT) | instid1(VALU_DEP_1)
	v_fma_f32 v9, -v5, v8, v7
	v_fmac_f32_e32 v8, v9, v6
	s_delay_alu instid0(VALU_DEP_1) | instskip(NEXT) | instid1(VALU_DEP_1)
	v_dual_fma_f32 v5, -v5, v8, v7 :: v_dual_mov_b32 v7, 0
	v_div_fmas_f32 v5, v5, v6, v8
	s_delay_alu instid0(VALU_DEP_1) | instskip(NEXT) | instid1(VALU_DEP_1)
	v_div_fixup_f32 v5, v5, v4, v0
	v_sub_f32_e32 v1, v1, v5
.LBB0_138:
	s_or_b32 exec_lo, exec_lo, s0
                                        ; implicit-def: $vgpr4
.LBB0_139:
	s_and_not1_saveexec_b32 s0, s10
	s_cbranch_execz .LBB0_143
; %bb.140:
	v_mov_b64_e32 v[2:3], 0
	s_mov_b32 s1, exec_lo
	v_cmpx_eq_u32_e32 0, v32
	s_cbranch_execz .LBB0_142
; %bb.141:
	v_sub_f32_e32 v0, v1, v4
	s_delay_alu instid0(VALU_DEP_1) | instskip(SKIP_1) | instid1(VALU_DEP_2)
	v_div_scale_f32 v2, null, v0, v0, v4
	v_div_scale_f32 v6, vcc_lo, v4, v0, v4
	v_rcp_f32_e32 v3, v2
	v_nop
	s_delay_alu instid0(TRANS32_DEP_1) | instskip(NEXT) | instid1(VALU_DEP_1)
	v_fma_f32 v5, -v2, v3, 1.0
	v_fmac_f32_e32 v3, v5, v3
	s_delay_alu instid0(VALU_DEP_1) | instskip(NEXT) | instid1(VALU_DEP_1)
	v_mul_f32_e32 v5, v6, v3
	v_fma_f32 v7, -v2, v5, v6
	s_delay_alu instid0(VALU_DEP_1) | instskip(NEXT) | instid1(VALU_DEP_1)
	v_fmac_f32_e32 v5, v7, v3
	v_fma_f32 v2, -v2, v5, v6
	s_delay_alu instid0(VALU_DEP_1) | instskip(SKIP_1) | instid1(VALU_DEP_2)
	v_div_fmas_f32 v2, v2, v3, v5
	v_mov_b32_e32 v3, 0
	v_div_fixup_f32 v2, v2, v0, v4
.LBB0_142:
	s_or_b32 exec_lo, exec_lo, s1
	v_dual_mov_b32 v5, 0 :: v_dual_mov_b32 v7, 0
	v_mov_b32_e32 v12, 0
.LBB0_143:
	s_or_b32 exec_lo, exec_lo, s0
.LBB0_144:
	s_delay_alu instid0(SALU_CYCLE_1)
	s_or_b32 exec_lo, exec_lo, s9
                                        ; implicit-def: $vgpr8
.LBB0_145:
	s_and_not1_saveexec_b32 s8, s8
	s_cbranch_execz .LBB0_159
; %bb.146:
	v_div_scale_f32 v0, null, v8, v8, 0x3ef01d82
	v_div_scale_f32 v3, vcc_lo, 0x3ef01d82, v8, 0x3ef01d82
	s_delay_alu instid0(VALU_DEP_2) | instskip(SKIP_1) | instid1(TRANS32_DEP_1)
	v_rcp_f32_e32 v1, v0
	v_nop
	v_fma_f32 v2, -v0, v1, 1.0
	s_delay_alu instid0(VALU_DEP_1) | instskip(NEXT) | instid1(VALU_DEP_1)
	v_fmac_f32_e32 v1, v2, v1
	v_mul_f32_e32 v2, v3, v1
	s_delay_alu instid0(VALU_DEP_1) | instskip(NEXT) | instid1(VALU_DEP_1)
	v_fma_f32 v4, -v0, v2, v3
	v_fmac_f32_e32 v2, v4, v1
	s_delay_alu instid0(VALU_DEP_1) | instskip(NEXT) | instid1(VALU_DEP_1)
	v_fma_f32 v0, -v0, v2, v3
	v_div_fmas_f32 v0, v0, v1, v2
	s_delay_alu instid0(VALU_DEP_1) | instskip(NEXT) | instid1(VALU_DEP_1)
	v_div_fixup_f32 v0, v0, v8, 0x3ef01d82
	v_add_f32_e32 v0, 0xbf33161b, v0
	s_delay_alu instid0(VALU_DEP_1) | instskip(SKIP_1) | instid1(VALU_DEP_2)
	v_div_scale_f32 v1, null, v8, v8, v0
	v_div_scale_f32 v4, vcc_lo, v0, v8, v0
	v_rcp_f32_e32 v2, v1
	v_nop
	s_delay_alu instid0(TRANS32_DEP_1) | instskip(NEXT) | instid1(VALU_DEP_1)
	v_fma_f32 v3, -v1, v2, 1.0
	v_fmac_f32_e32 v2, v3, v2
	s_delay_alu instid0(VALU_DEP_1) | instskip(NEXT) | instid1(VALU_DEP_1)
	v_mul_f32_e32 v3, v4, v2
	v_fma_f32 v5, -v1, v3, v4
	s_delay_alu instid0(VALU_DEP_1) | instskip(NEXT) | instid1(VALU_DEP_1)
	v_fmac_f32_e32 v3, v5, v2
	v_fma_f32 v1, -v1, v3, v4
	s_delay_alu instid0(VALU_DEP_1) | instskip(NEXT) | instid1(VALU_DEP_1)
	v_div_fmas_f32 v1, v1, v2, v3
	v_div_fixup_f32 v0, v1, v8, v0
	s_delay_alu instid0(VALU_DEP_1) | instskip(NEXT) | instid1(VALU_DEP_1)
	v_add_f32_e32 v0, 0x3f0971cf, v0
	v_div_scale_f32 v1, null, v8, v8, v0
	v_div_scale_f32 v4, vcc_lo, v0, v8, v0
	s_delay_alu instid0(VALU_DEP_2) | instskip(SKIP_1) | instid1(TRANS32_DEP_1)
	v_rcp_f32_e32 v2, v1
	v_nop
	v_fma_f32 v3, -v1, v2, 1.0
	s_delay_alu instid0(VALU_DEP_1) | instskip(NEXT) | instid1(VALU_DEP_1)
	v_fmac_f32_e32 v2, v3, v2
	v_mul_f32_e32 v3, v4, v2
	s_delay_alu instid0(VALU_DEP_1) | instskip(NEXT) | instid1(VALU_DEP_1)
	v_fma_f32 v5, -v1, v3, v4
	v_fmac_f32_e32 v3, v5, v2
	s_delay_alu instid0(VALU_DEP_1) | instskip(NEXT) | instid1(VALU_DEP_1)
	v_fma_f32 v1, -v1, v3, v4
	v_div_fmas_f32 v1, v1, v2, v3
	s_delay_alu instid0(VALU_DEP_1) | instskip(NEXT) | instid1(VALU_DEP_1)
	v_div_fixup_f32 v0, v1, v8, v0
	v_add_f32_e32 v0, 0xbea85c72, v0
	s_delay_alu instid0(VALU_DEP_1) | instskip(SKIP_1) | instid1(VALU_DEP_2)
	v_div_scale_f32 v1, null, v8, v8, v0
	v_div_scale_f32 v4, vcc_lo, v0, v8, v0
	v_rcp_f32_e32 v2, v1
	v_nop
	s_delay_alu instid0(TRANS32_DEP_1) | instskip(NEXT) | instid1(VALU_DEP_1)
	v_fma_f32 v3, -v1, v2, 1.0
	v_fmac_f32_e32 v2, v3, v2
	s_delay_alu instid0(VALU_DEP_1) | instskip(NEXT) | instid1(VALU_DEP_1)
	v_mul_f32_e32 v3, v4, v2
	v_fma_f32 v5, -v1, v3, v4
	s_delay_alu instid0(VALU_DEP_1) | instskip(NEXT) | instid1(VALU_DEP_1)
	v_fmac_f32_e32 v3, v5, v2
	v_fma_f32 v1, -v1, v3, v4
	s_delay_alu instid0(VALU_DEP_1) | instskip(NEXT) | instid1(VALU_DEP_1)
	v_div_fmas_f32 v1, v1, v2, v3
	v_div_fixup_f32 v0, v1, v8, v0
	s_delay_alu instid0(VALU_DEP_1) | instskip(NEXT) | instid1(VALU_DEP_1)
	v_add_f32_e32 v0, 0x3e7c5ef4, v0
	v_div_scale_f32 v1, null, v8, v8, v0
	v_div_scale_f32 v4, vcc_lo, v0, v8, v0
	s_delay_alu instid0(VALU_DEP_2) | instskip(SKIP_1) | instid1(TRANS32_DEP_1)
	v_rcp_f32_e32 v2, v1
	v_nop
	v_fma_f32 v3, -v1, v2, 1.0
	s_delay_alu instid0(VALU_DEP_1) | instskip(NEXT) | instid1(VALU_DEP_1)
	v_fmac_f32_e32 v2, v3, v2
	v_mul_f32_e32 v3, v4, v2
	s_delay_alu instid0(VALU_DEP_1) | instskip(NEXT) | instid1(VALU_DEP_1)
	v_fma_f32 v5, -v1, v3, v4
	v_fmac_f32_e32 v3, v5, v2
	s_delay_alu instid0(VALU_DEP_1) | instskip(NEXT) | instid1(VALU_DEP_1)
	v_fma_f32 v1, -v1, v3, v4
	v_div_fmas_f32 v1, v1, v2, v3
	v_div_scale_f32 v2, null, v8, v8, 0x3f490fdb
	s_delay_alu instid0(VALU_DEP_2) | instskip(NEXT) | instid1(VALU_DEP_2)
	v_div_fixup_f32 v0, v1, v8, v0
	v_rcp_f32_e32 v4, v2
	s_delay_alu instid0(VALU_DEP_1) | instskip(NEXT) | instid1(TRANS32_DEP_1)
	v_add_f32_e32 v0, 0xbeffeb20, v0
	v_fma_f32 v6, -v2, v4, 1.0
	s_delay_alu instid0(VALU_DEP_2) | instskip(SKIP_1) | instid1(VALU_DEP_3)
	v_div_scale_f32 v1, null, v8, v8, v0
	v_div_scale_f32 v7, vcc_lo, v0, v8, v0
	v_fmac_f32_e32 v4, v6, v4
	s_delay_alu instid0(VALU_DEP_3) | instskip(SKIP_1) | instid1(TRANS32_DEP_1)
	v_rcp_f32_e32 v3, v1
	v_nop
	v_fma_f32 v5, -v1, v3, 1.0
	s_delay_alu instid0(VALU_DEP_1) | instskip(SKIP_1) | instid1(VALU_DEP_1)
	v_fmac_f32_e32 v3, v5, v3
	v_div_scale_f32 v5, s0, 0x3f490fdb, v8, 0x3f490fdb
	v_mul_f32_e32 v9, v5, v4
	s_delay_alu instid0(VALU_DEP_1) | instskip(NEXT) | instid1(VALU_DEP_1)
	v_fma_f32 v13, -v2, v9, v5
	v_fmac_f32_e32 v9, v13, v4
	s_delay_alu instid0(VALU_DEP_1) | instskip(NEXT) | instid1(VALU_DEP_1)
	v_dual_fma_f32 v2, -v2, v9, v5 :: v_dual_mul_f32 v6, v7, v3
	v_fma_f32 v12, -v1, v6, v7
	s_delay_alu instid0(VALU_DEP_1) | instskip(NEXT) | instid1(VALU_DEP_1)
	v_fmac_f32_e32 v6, v12, v3
	v_fma_f32 v1, -v1, v6, v7
	s_delay_alu instid0(VALU_DEP_1) | instskip(SKIP_2) | instid1(VALU_DEP_2)
	v_div_fmas_f32 v1, v1, v3, v6
	s_mov_b32 vcc_lo, s0
	v_div_fmas_f32 v2, v2, v4, v9
	v_div_fixup_f32 v0, v1, v8, v0
	s_delay_alu instid0(VALU_DEP_2) | instskip(NEXT) | instid1(VALU_DEP_2)
	v_div_fixup_f32 v2, v2, v8, 0x3f490fdb
	v_add_f32_e32 v0, 0xb6536671, v0
	s_delay_alu instid0(VALU_DEP_2) | instskip(SKIP_1) | instid1(VALU_DEP_2)
	v_mul_f32_e32 v3, 0x4f800000, v2
	v_cmp_gt_f32_e32 vcc_lo, 0xf800000, v2
	v_cndmask_b32_e32 v2, v2, v3, vcc_lo
	s_delay_alu instid0(VALU_DEP_1) | instskip(SKIP_1) | instid1(TRANS32_DEP_1)
	v_sqrt_f32_e32 v5, v2
	v_nop
	v_dual_mul_f32 v4, 0xbfb8aa3b, v8 :: v_dual_add_nc_u32 v7, -1, v5
	s_delay_alu instid0(VALU_DEP_1) | instskip(SKIP_1) | instid1(VALU_DEP_2)
	v_rndne_f32_e32 v3, v4
	v_fma_f32 v6, 0xbfb8aa3b, v8, -v4
	v_dual_fma_f32 v9, -v7, v5, v2 :: v_dual_sub_f32 v4, v4, v3
	s_delay_alu instid0(VALU_DEP_2) | instskip(SKIP_1) | instid1(VALU_DEP_3)
	v_fmamk_f32 v6, v8, 0xb2a5705f, v6
	v_cvt_i32_f32_e32 v3, v3
	v_cmp_ge_f32_e64 s0, 0, v9
	s_delay_alu instid0(VALU_DEP_3) | instskip(NEXT) | instid1(VALU_DEP_1)
	v_dual_add_f32 v4, v4, v6 :: v_dual_add_nc_u32 v6, 1, v5
	v_exp_f32_e32 v4, v4
	s_delay_alu instid0(VALU_DEP_1) | instskip(NEXT) | instid1(VALU_DEP_1)
	v_dual_fma_f32 v12, -v6, v5, v2 :: v_dual_cndmask_b32 v5, v5, v7, s0
	v_cmp_lt_f32_e64 s0, 0, v12
	s_delay_alu instid0(TRANS32_DEP_1) | instskip(NEXT) | instid1(VALU_DEP_2)
	v_ldexp_f32 v3, v4, v3
                                        ; implicit-def: $vgpr12
	v_cndmask_b32_e64 v5, v5, v6, s0
	v_cmp_nlt_f32_e64 s0, 0x42ce8ed0, v8
	s_delay_alu instid0(VALU_DEP_1) | instskip(NEXT) | instid1(VALU_DEP_3)
	v_cndmask_b32_e64 v3, 0, v3, s0
	v_mul_f32_e32 v4, 0x37800000, v5
	s_mov_b32 s0, exec_lo
	s_delay_alu instid0(VALU_DEP_1) | instskip(SKIP_3) | instid1(VALU_DEP_4)
	v_cndmask_b32_e32 v1, v5, v4, vcc_lo
	v_cmp_ngt_f32_e32 vcc_lo, 0xc2b17218, v8
	v_cndmask_b32_e32 v6, 0x7f800000, v3, vcc_lo
	v_cmp_class_f32_e64 vcc_lo, v2, 0x260
	v_cndmask_b32_e32 v1, v1, v2, vcc_lo
	s_delay_alu instid0(VALU_DEP_1) | instskip(NEXT) | instid1(VALU_DEP_1)
	v_fmac_f32_e32 v1, v6, v0
	v_dual_add_f32 v0, v8, v8 :: v_dual_sub_f32 v2, v1, v6
	s_delay_alu instid0(VALU_DEP_1) | instskip(SKIP_1) | instid1(VALU_DEP_2)
	v_div_scale_f32 v3, null, v0, v0, v2
	v_div_scale_f32 v7, vcc_lo, v2, v0, v2
	v_rcp_f32_e32 v4, v3
	v_nop
	s_delay_alu instid0(TRANS32_DEP_1) | instskip(NEXT) | instid1(VALU_DEP_1)
	v_fma_f32 v5, -v3, v4, 1.0
	v_fmac_f32_e32 v4, v5, v4
	s_delay_alu instid0(VALU_DEP_1) | instskip(NEXT) | instid1(VALU_DEP_1)
	v_mul_f32_e32 v5, v7, v4
	v_fma_f32 v9, -v3, v5, v7
	s_delay_alu instid0(VALU_DEP_1) | instskip(NEXT) | instid1(VALU_DEP_1)
	v_fmac_f32_e32 v5, v9, v4
	v_fma_f32 v3, -v3, v5, v7
                                        ; implicit-def: $vgpr7
	s_delay_alu instid0(VALU_DEP_1) | instskip(NEXT) | instid1(VALU_DEP_1)
	v_div_fmas_f32 v3, v3, v4, v5
                                        ; implicit-def: $vgpr5
	v_div_fixup_f32 v4, v3, v0, v2
                                        ; implicit-def: $vgpr2_vgpr3
	v_cmpx_lt_i32_e32 0, v32
	s_xor_b32 s9, exec_lo, s0
	s_cbranch_execz .LBB0_154
; %bb.147:
                                        ; implicit-def: $vgpr5
                                        ; implicit-def: $vgpr2_vgpr3
                                        ; implicit-def: $vgpr7
                                        ; implicit-def: $vgpr12
	s_mov_b32 s0, exec_lo
	v_cmpx_lt_i32_e32 1, v32
	s_xor_b32 s10, exec_lo, s0
	s_cbranch_execz .LBB0_151
; %bb.148:
	v_mov_b64_e32 v[2:3], 0
	v_dual_mov_b32 v5, 0 :: v_dual_mov_b32 v7, 0
	v_mov_b32_e32 v12, 0
	s_mov_b32 s11, exec_lo
	v_cmpx_eq_u32_e32 2, v32
	s_cbranch_execz .LBB0_150
; %bb.149:
	v_mov_b64_e32 v[2:3], 0x284c661426259169
	v_mov_b64_e32 v[12:13], 0x27fbf9fd264d2fc8
	v_fma_f32 v7, 2.0, v4, v4
	v_add_f32_e32 v8, 0xc0f00000, v8
	v_mov_b64_e32 v[16:17], 0xab71f1f5a997b271
	s_mov_b32 s0, 0x27f012f7
	s_delay_alu instid0(VALU_DEP_3) | instskip(NEXT) | instid1(VALU_DEP_3)
	v_sub_f32_e32 v97, v7, v6
	v_pk_fma_f32 v[2:3], v[8:9], v[2:3], v[12:13] op_sel_hi:[0,1,1]
	v_mov_b64_e32 v[12:13], 0xacba40b2ab30554d
	v_mov_b64_e32 v[6:7], 0x3e8d4bde3cc3e179
	v_fmaak_f32 v5, s0, v8, 0x2a503dd5
	s_delay_alu instid0(VALU_DEP_4) | instskip(SKIP_1) | instid1(VALU_DEP_3)
	v_pk_fma_f32 v[2:3], v[8:9], v[2:3], v[16:17] op_sel_hi:[0,1,1]
	v_mov_b64_e32 v[16:17], 0xaddb36cc2d676934
	v_fmaak_f32 v5, v8, v5, 0xac0bb11f
	s_delay_alu instid0(VALU_DEP_3) | instskip(SKIP_1) | instid1(VALU_DEP_2)
	v_pk_fma_f32 v[2:3], v[8:9], v[2:3], v[12:13] op_sel_hi:[0,1,1]
	v_mov_b64_e32 v[12:13], 0x313c1292ae3a6c9b
	v_pk_fma_f32 v[2:3], v[8:9], v[2:3], v[16:17] op_sel_hi:[0,1,1]
	v_mov_b64_e32 v[16:17], 0xb2373c3d30bf15ab
	s_delay_alu instid0(VALU_DEP_2) | instskip(SKIP_1) | instid1(VALU_DEP_2)
	v_pk_fma_f32 v[2:3], v[8:9], v[2:3], v[12:13] op_sel_hi:[0,1,1]
	v_mov_b64_e32 v[12:13], 0xb4ec5bd9b347e8b8
	v_pk_fma_f32 v[2:3], v[8:9], v[2:3], v[16:17] op_sel_hi:[0,1,1]
	v_mov_b64_e32 v[16:17], 0x37226b9e35453202
	s_delay_alu instid0(VALU_DEP_2) | instskip(SKIP_1) | instid1(VALU_DEP_2)
	;; [unrolled: 5-line block ×3, first 2 shown]
	v_pk_fma_f32 v[2:3], v[8:9], v[2:3], v[12:13] op_sel_hi:[0,1,1]
	v_mov_b64_e32 v[12:13], 0xbd04a59dbb1d32a8
	v_pk_fma_f32 v[2:3], v[8:9], v[2:3], v[16:17] op_sel_hi:[0,1,1]
	v_div_scale_f32 v9, null, v0, v0, v97
	s_delay_alu instid0(VALU_DEP_1) | instskip(SKIP_1) | instid1(VALU_DEP_1)
	v_pk_fma_f32 v[2:3], v[8:9], v[2:3], v[12:13] op_sel_hi:[0,1,1]
	v_rcp_f32_e32 v13, v9
	v_pk_fma_f32 v[2:3], v[8:9], v[2:3], v[6:7] op_sel_hi:[0,1,1]
	s_delay_alu instid0(VALU_DEP_1) | instskip(NEXT) | instid1(VALU_DEP_1)
	v_pk_add_f32 v[6:7], v[2:3], 1.0 op_sel_hi:[1,0]
	v_div_scale_f32 v20, null, v6, v6, v2
	s_delay_alu instid0(VALU_DEP_2) | instskip(SKIP_1) | instid1(VALU_DEP_3)
	v_div_scale_f32 v101, s0, v3, v7, v3
	v_div_scale_f32 v102, s1, v2, v6, v2
	v_rcp_f32_e32 v100, v20
	v_nop
	s_delay_alu instid0(TRANS32_DEP_1) | instskip(NEXT) | instid1(VALU_DEP_1)
	v_fma_f32 v113, -v20, v100, 1.0
	v_dual_fmaak_f32 v5, v8, v5, 0xadcb20ac :: v_dual_fmac_f32 v100, v113, v100
	s_delay_alu instid0(VALU_DEP_1) | instskip(NEXT) | instid1(VALU_DEP_2)
	v_fmaak_f32 v5, v8, v5, 0x2fd764bb
	v_mul_f32_e32 v115, v102, v100
	s_delay_alu instid0(VALU_DEP_2) | instskip(NEXT) | instid1(VALU_DEP_2)
	v_fmaak_f32 v5, v8, v5, 0x30e4956d
	v_fma_f32 v117, -v20, v115, v102
	s_delay_alu instid0(VALU_DEP_2) | instskip(NEXT) | instid1(VALU_DEP_1)
	v_fmaak_f32 v5, v8, v5, 0xb385439a
	v_fmaak_f32 v5, v8, v5, 0x3216a907
	s_delay_alu instid0(VALU_DEP_1) | instskip(NEXT) | instid1(VALU_DEP_1)
	v_fmaak_f32 v5, v8, v5, 0x3716877f
	v_fmaak_f32 v5, v8, v5, 0xb803cc7a
	s_delay_alu instid0(VALU_DEP_1) | instskip(NEXT) | instid1(VALU_DEP_1)
	;; [unrolled: 3-line block ×3, first 2 shown]
	v_fmaak_f32 v5, v8, v5, 0xbea5091a
	v_fmaak_f32 v12, v8, v5, 0x3fde2f9f
	v_fma_f32 v5, -v9, v13, 1.0
	v_div_scale_f32 v8, vcc_lo, v97, v0, v97
	s_delay_alu instid0(VALU_DEP_2) | instskip(SKIP_1) | instid1(VALU_DEP_2)
	v_dual_add_f32 v16, 1.0, v12 :: v_dual_fmac_f32 v13, v5, v13
	v_div_scale_f32 v5, null, v7, v7, v3
	v_div_scale_f32 v17, null, v16, v16, v12
	s_delay_alu instid0(VALU_DEP_2) | instskip(NEXT) | instid1(VALU_DEP_3)
	v_rcp_f32_e32 v98, v5
	v_mul_f32_e32 v21, v8, v13
	v_div_scale_f32 v114, s2, v12, v16, v12
	s_delay_alu instid0(VALU_DEP_3) | instskip(NEXT) | instid1(TRANS32_DEP_2)
	v_rcp_f32_e32 v99, v17
	v_fma_f32 v103, -v5, v98, 1.0
	s_delay_alu instid0(TRANS32_DEP_1) | instskip(NEXT) | instid1(VALU_DEP_2)
	v_fma_f32 v112, -v17, v99, 1.0
	v_dual_fmac_f32 v98, v103, v98 :: v_dual_fma_f32 v103, -v9, v21, v8
	s_delay_alu instid0(VALU_DEP_1) | instskip(NEXT) | instid1(VALU_DEP_1)
	v_dual_fmac_f32 v99, v112, v99 :: v_dual_mul_f32 v112, v101, v98
	v_dual_fmac_f32 v21, v103, v13 :: v_dual_mul_f32 v113, v114, v99
	s_delay_alu instid0(VALU_DEP_2) | instskip(NEXT) | instid1(VALU_DEP_2)
	v_fma_f32 v103, -v5, v112, v101
	v_fma_f32 v116, -v17, v113, v114
	s_delay_alu instid0(VALU_DEP_3) | instskip(NEXT) | instid1(VALU_DEP_2)
	v_fma_f32 v8, -v9, v21, v8
	v_dual_fmac_f32 v112, v103, v98 :: v_dual_fmac_f32 v113, v116, v99
	s_delay_alu instid0(VALU_DEP_2) | instskip(NEXT) | instid1(VALU_DEP_2)
	v_div_fmas_f32 v13, v8, v13, v21
	v_fma_f32 v5, -v5, v112, v101
	s_mov_b32 vcc_lo, s2
	s_delay_alu instid0(VALU_DEP_3) | instskip(NEXT) | instid1(VALU_DEP_3)
	v_fma_f32 v8, -v17, v113, v114
	v_div_fixup_f32 v0, v13, v0, v97
	s_delay_alu instid0(VALU_DEP_2) | instskip(SKIP_3) | instid1(VALU_DEP_2)
	v_div_fmas_f32 v8, v8, v99, v113
	s_mov_b32 vcc_lo, s0
	v_div_fmas_f32 v5, v5, v98, v112
	s_mov_b32 vcc_lo, s1
	v_div_fixup_f32 v8, v8, v16, v12
	s_delay_alu instid0(VALU_DEP_2) | instskip(NEXT) | instid1(VALU_DEP_1)
	v_div_fixup_f32 v7, v5, v7, v3
	v_dual_fmac_f32 v115, v117, v100 :: v_dual_mov_b32 v5, v7
	s_delay_alu instid0(VALU_DEP_1) | instskip(NEXT) | instid1(VALU_DEP_1)
	v_fma_f32 v9, -v20, v115, v102
	v_div_fmas_f32 v9, v9, v100, v115
	s_delay_alu instid0(VALU_DEP_1) | instskip(NEXT) | instid1(VALU_DEP_1)
	v_div_fixup_f32 v6, v9, v6, v2
	v_dual_mul_f32 v16, v1, v6 :: v_dual_mov_b32 v17, v6
	v_pk_add_f32 v[20:21], v[8:9], v[6:7] op_sel_hi:[0,1] neg_lo:[0,1] neg_hi:[0,1]
	s_delay_alu instid0(VALU_DEP_2) | instskip(NEXT) | instid1(VALU_DEP_2)
	v_pk_add_f32 v[16:17], v[4:5], v[16:17] neg_lo:[0,1] neg_hi:[0,1]
	v_dual_mov_b32 v9, v21 :: v_dual_mov_b32 v13, v20
	s_delay_alu instid0(VALU_DEP_2) | instskip(NEXT) | instid1(VALU_DEP_2)
	v_mov_b32_e32 v5, v16
	v_pk_mul_f32 v[8:9], v[16:17], v[8:9]
	v_fma_f32 v17, -v4, v6, v0
	s_delay_alu instid0(VALU_DEP_3) | instskip(NEXT) | instid1(VALU_DEP_2)
	v_pk_mul_f32 v[4:5], v[6:7], v[4:5]
	v_dual_mov_b32 v16, v8 :: v_dual_mov_b32 v4, v17
	v_pk_mul_f32 v[6:7], v[20:21], v[12:13]
	s_delay_alu instid0(VALU_DEP_2) | instskip(NEXT) | instid1(VALU_DEP_1)
	v_pk_add_f32 v[16:17], v[16:17], v[4:5] neg_lo:[0,1] neg_hi:[0,1]
	v_div_scale_f32 v0, null, v7, v7, v17
	s_delay_alu instid0(VALU_DEP_2) | instskip(SKIP_1) | instid1(VALU_DEP_3)
	v_div_scale_f32 v4, null, v9, v9, v16
	v_div_scale_f32 v20, vcc_lo, v17, v7, v17
	v_rcp_f32_e32 v5, v0
	s_delay_alu instid0(VALU_DEP_2) | instskip(NEXT) | instid1(TRANS32_DEP_2)
	v_rcp_f32_e32 v6, v4
	v_fma_f32 v8, -v0, v5, 1.0
	s_delay_alu instid0(TRANS32_DEP_1) | instskip(NEXT) | instid1(VALU_DEP_1)
	v_fma_f32 v13, -v4, v6, 1.0
	v_dual_fmac_f32 v6, v13, v6 :: v_dual_fmac_f32 v5, v8, v5
	v_div_scale_f32 v8, s0, v16, v9, v16
	s_delay_alu instid0(VALU_DEP_1) | instskip(NEXT) | instid1(VALU_DEP_3)
	v_mul_f32_e32 v21, v8, v6
	v_mul_f32_e32 v13, v20, v5
	s_delay_alu instid0(VALU_DEP_2) | instskip(NEXT) | instid1(VALU_DEP_1)
	v_fma_f32 v98, -v4, v21, v8
	v_dual_fma_f32 v97, -v0, v13, v20 :: v_dual_fmac_f32 v21, v98, v6
	s_delay_alu instid0(VALU_DEP_1) | instskip(NEXT) | instid1(VALU_DEP_2)
	v_fmac_f32_e32 v13, v97, v5
	v_fma_f32 v4, -v4, v21, v8
	s_delay_alu instid0(VALU_DEP_2) | instskip(NEXT) | instid1(VALU_DEP_1)
	v_fma_f32 v0, -v0, v13, v20
	v_div_fmas_f32 v0, v0, v5, v13
	s_mov_b32 vcc_lo, s0
	s_delay_alu instid0(VALU_DEP_3) | instskip(NEXT) | instid1(VALU_DEP_2)
	v_div_fmas_f32 v4, v4, v6, v21
	v_div_fixup_f32 v7, v0, v7, v17
	s_delay_alu instid0(VALU_DEP_2) | instskip(NEXT) | instid1(VALU_DEP_1)
	v_div_fixup_f32 v5, v4, v9, v16
	v_sub_f32_e32 v0, v1, v5
	s_delay_alu instid0(VALU_DEP_1)
	v_sub_f32_e32 v1, v0, v7
.LBB0_150:
	s_or_b32 exec_lo, exec_lo, s11
                                        ; implicit-def: $vgpr8
                                        ; implicit-def: $vgpr4
.LBB0_151:
	s_and_not1_saveexec_b32 s0, s10
	s_cbranch_execz .LBB0_153
; %bb.152:
	s_delay_alu instid0(VALU_DEP_1) | instskip(SKIP_3) | instid1(VALU_DEP_3)
	v_dual_add_f32 v0, 0xc0f00000, v8 :: v_dual_sub_f32 v5, v4, v1
	s_mov_b32 s1, 0xa52598e6
	v_mov_b64_e32 v[2:3], 0xaa19400c2874b170
	v_mov_b32_e32 v7, 0x28e01771
	v_fmaak_f32 v6, s1, v0, 0x25894ff5
	v_mov_b64_e32 v[8:9], 0xac1c860ca99f1434
	v_mov_b32_e32 v12, 0
	s_delay_alu instid0(VALU_DEP_3) | instskip(SKIP_1) | instid1(VALU_DEP_2)
	v_pk_fma_f32 v[2:3], v[0:1], v[6:7], v[2:3] op_sel_hi:[0,1,1]
	v_mov_b64_e32 v[6:7], 0x2e384d81ab59476c
	v_pk_fma_f32 v[2:3], v[0:1], v[2:3], v[8:9] op_sel_hi:[0,1,1]
	v_mov_b64_e32 v[8:9], 0xaf7464142d09438a
	s_delay_alu instid0(VALU_DEP_2) | instskip(SKIP_1) | instid1(VALU_DEP_2)
	v_pk_fma_f32 v[2:3], v[0:1], v[2:3], v[6:7] op_sel_hi:[0,1,1]
	v_mov_b64_e32 v[6:7], 0xb13455202e91c462
	v_pk_fma_f32 v[2:3], v[0:1], v[2:3], v[8:9] op_sel_hi:[0,1,1]
	v_mov_b64_e32 v[8:9], 0x338399e1b0f4081c
	s_delay_alu instid0(VALU_DEP_2) | instskip(SKIP_1) | instid1(VALU_DEP_2)
	;; [unrolled: 5-line block ×5, first 2 shown]
	v_pk_fma_f32 v[2:3], v[0:1], v[2:3], v[6:7] op_sel_hi:[0,1,1]
	v_mov_b64_e32 v[6:7], 0x3f0b75bc3d188f1d
	v_pk_fma_f32 v[2:3], v[0:1], v[2:3], v[8:9] op_sel_hi:[0,1,1]
	s_delay_alu instid0(VALU_DEP_1) | instskip(NEXT) | instid1(VALU_DEP_1)
	v_pk_fma_f32 v[2:3], v[0:1], v[2:3], v[6:7] op_sel_hi:[0,1,1]
	v_dual_fmac_f32 v4, v5, v2 :: v_dual_add_f32 v0, 1.0, v3
	s_delay_alu instid0(VALU_DEP_1) | instskip(NEXT) | instid1(VALU_DEP_1)
	v_dual_sub_f32 v5, v3, v2 :: v_dual_mul_f32 v0, v0, v4
	v_div_scale_f32 v4, null, v5, v5, v0
	v_div_scale_f32 v8, vcc_lo, v0, v5, v0
	s_delay_alu instid0(VALU_DEP_2) | instskip(SKIP_1) | instid1(TRANS32_DEP_1)
	v_rcp_f32_e32 v6, v4
	v_nop
	v_fma_f32 v7, -v4, v6, 1.0
	s_delay_alu instid0(VALU_DEP_1) | instskip(NEXT) | instid1(VALU_DEP_1)
	v_fmac_f32_e32 v6, v7, v6
	v_mul_f32_e32 v7, v8, v6
	s_delay_alu instid0(VALU_DEP_1) | instskip(NEXT) | instid1(VALU_DEP_1)
	v_fma_f32 v9, -v4, v7, v8
	v_fmac_f32_e32 v7, v9, v6
	s_delay_alu instid0(VALU_DEP_1) | instskip(NEXT) | instid1(VALU_DEP_1)
	v_fma_f32 v4, -v4, v7, v8
	v_div_fmas_f32 v4, v4, v6, v7
	v_mov_b32_e32 v7, 0
	s_delay_alu instid0(VALU_DEP_2) | instskip(NEXT) | instid1(VALU_DEP_1)
	v_div_fixup_f32 v5, v4, v5, v0
	v_sub_f32_e32 v1, v1, v5
.LBB0_153:
	s_or_b32 exec_lo, exec_lo, s0
                                        ; implicit-def: $vgpr4
.LBB0_154:
	s_and_not1_saveexec_b32 s0, s9
	s_cbranch_execz .LBB0_158
; %bb.155:
	v_mov_b64_e32 v[2:3], 0
	s_mov_b32 s1, exec_lo
	v_cmpx_eq_u32_e32 0, v32
	s_cbranch_execz .LBB0_157
; %bb.156:
	v_sub_f32_e32 v0, v1, v4
	s_delay_alu instid0(VALU_DEP_1) | instskip(SKIP_1) | instid1(VALU_DEP_2)
	v_div_scale_f32 v2, null, v0, v0, v4
	v_div_scale_f32 v6, vcc_lo, v4, v0, v4
	v_rcp_f32_e32 v3, v2
	v_nop
	s_delay_alu instid0(TRANS32_DEP_1) | instskip(NEXT) | instid1(VALU_DEP_1)
	v_fma_f32 v5, -v2, v3, 1.0
	v_fmac_f32_e32 v3, v5, v3
	s_delay_alu instid0(VALU_DEP_1) | instskip(NEXT) | instid1(VALU_DEP_1)
	v_mul_f32_e32 v5, v6, v3
	v_fma_f32 v7, -v2, v5, v6
	s_delay_alu instid0(VALU_DEP_1) | instskip(NEXT) | instid1(VALU_DEP_1)
	v_fmac_f32_e32 v5, v7, v3
	v_fma_f32 v2, -v2, v5, v6
	s_delay_alu instid0(VALU_DEP_1) | instskip(SKIP_1) | instid1(VALU_DEP_2)
	v_div_fmas_f32 v2, v2, v3, v5
	v_mov_b32_e32 v3, 0
	v_div_fixup_f32 v2, v2, v0, v4
.LBB0_157:
	s_or_b32 exec_lo, exec_lo, s1
	v_dual_mov_b32 v5, 0 :: v_dual_mov_b32 v7, 0
	v_mov_b32_e32 v12, 0
.LBB0_158:
	s_or_b32 exec_lo, exec_lo, s0
.LBB0_159:
	s_delay_alu instid0(SALU_CYCLE_1)
	s_or_b32 exec_lo, exec_lo, s8
                                        ; implicit-def: $vgpr8
.LBB0_160:
	s_and_not1_saveexec_b32 s0, s7
	s_cbranch_execz .LBB0_466
; %bb.161:
	v_add_f32_e32 v0, -4.0, v8
	s_mov_b32 s1, exec_lo
                                        ; implicit-def: $vgpr5
                                        ; implicit-def: $vgpr1
                                        ; implicit-def: $vgpr2_vgpr3
                                        ; implicit-def: $vgpr7
                                        ; implicit-def: $vgpr12
	v_cmpx_lt_i32_e32 0, v32
	s_xor_b32 s1, exec_lo, s1
	s_cbranch_execz .LBB0_169
; %bb.162:
	s_mov_b32 s2, exec_lo
                                        ; implicit-def: $vgpr5
                                        ; implicit-def: $vgpr1
                                        ; implicit-def: $vgpr2_vgpr3
                                        ; implicit-def: $vgpr7
                                        ; implicit-def: $vgpr12
	v_cmpx_lt_i32_e32 1, v32
	s_xor_b32 s2, exec_lo, s2
	s_cbranch_execz .LBB0_166
; %bb.163:
	v_mov_b64_e32 v[2:3], 0
	v_dual_mov_b32 v5, 0 :: v_dual_mov_b32 v1, 0
	v_dual_mov_b32 v7, 0 :: v_dual_mov_b32 v12, 0
	s_mov_b32 s7, exec_lo
	v_cmpx_eq_u32_e32 2, v32
	s_cbranch_execz .LBB0_165
; %bb.164:
	s_mov_b32 s8, 0xade98f26
	v_mov_b64_e32 v[4:5], 0x31146a0bb000439b
	v_fmaak_f32 v3, s8, v0, 0x2f59351d
	v_mov_b32_e32 v2, 0x2d7dcb80
	s_mov_b32 s8, 0xafd7f66f
	v_cmp_nlt_f32_e32 vcc_lo, 0x42ce8ed0, v8
	s_delay_alu instid0(VALU_DEP_2) | instskip(SKIP_1) | instid1(VALU_DEP_1)
	v_pk_fma_f32 v[2:3], v[0:1], v[2:3], v[4:5] op_sel_hi:[0,1,1]
	v_mov_b64_e32 v[4:5], 0xb3aabc1932036958
	v_pk_fma_f32 v[2:3], v[0:1], v[2:3], v[4:5] op_sel_hi:[0,1,1]
	v_mov_b64_e32 v[4:5], 0x350a4009b4041055
	s_delay_alu instid0(VALU_DEP_1) | instskip(SKIP_1) | instid1(VALU_DEP_1)
	v_pk_fma_f32 v[2:3], v[0:1], v[2:3], v[4:5] op_sel_hi:[0,1,1]
	v_mov_b64_e32 v[4:5], 0x373b8ce33607f674
	v_pk_fma_f32 v[2:3], v[0:1], v[2:3], v[4:5] op_sel_hi:[0,1,1]
	v_mov_b64_e32 v[4:5], 0xb9aef9bbb7f0cb3c
	s_delay_alu instid0(VALU_DEP_1) | instskip(SKIP_1) | instid1(VALU_DEP_1)
	v_pk_fma_f32 v[2:3], v[0:1], v[2:3], v[4:5] op_sel_hi:[0,1,1]
	v_mov_b64_e32 v[4:5], 0x3badde1339c22871
	v_pk_fma_f32 v[2:3], v[0:1], v[2:3], v[4:5] op_sel_hi:[0,1,1]
	v_mov_b64_e32 v[4:5], 0xbd73173bbb89f492
	s_delay_alu instid0(VALU_DEP_1) | instskip(SKIP_1) | instid1(VALU_DEP_1)
	v_pk_fma_f32 v[2:3], v[0:1], v[2:3], v[4:5] op_sel_hi:[0,1,1]
	v_mov_b64_e32 v[4:5], 0x3edcc3b23d0fba5f
	v_pk_fma_f32 v[2:3], v[0:1], v[2:3], v[4:5] op_sel_hi:[0,1,1]
	v_fmaak_f32 v1, s8, v0, 0xb18f14fa
	s_mov_b32 s8, 0xadd04817
	s_delay_alu instid0(VALU_DEP_1) | instskip(NEXT) | instid1(VALU_DEP_1)
	v_fmaak_f32 v1, v0, v1, 0x333e03d4
	v_fmaak_f32 v1, v0, v1, 0x352bf3f3
	s_delay_alu instid0(VALU_DEP_1) | instskip(NEXT) | instid1(VALU_DEP_1)
	v_fmaak_f32 v1, v0, v1, 0xb64d06a4
	v_fmaak_f32 v1, v0, v1, 0xb8dcd299
	s_delay_alu instid0(VALU_DEP_1) | instskip(NEXT) | instid1(VALU_DEP_1)
	v_fmaak_f32 v1, v0, v1, 0xba20fcf6
	v_fmaak_f32 v1, v0, v1, 0x3d48912e
	s_delay_alu instid0(VALU_DEP_1) | instskip(NEXT) | instid1(VALU_DEP_1)
	v_fmaak_f32 v1, v0, v1, 0xbf1fdf20
	v_fmaak_f32 v12, v0, v1, 0x40574dcb
	v_fmaak_f32 v1, s8, v0, 0x2f9ef5e4
	s_delay_alu instid0(VALU_DEP_1) | instskip(NEXT) | instid1(VALU_DEP_1)
	v_fmaak_f32 v1, v0, v1, 0xb15a9abc
	v_fmaak_f32 v1, v0, v1, 0x330bbb29
	s_delay_alu instid0(VALU_DEP_1) | instskip(NEXT) | instid1(VALU_DEP_1)
	v_fmaak_f32 v1, v0, v1, 0xb4a187c8
	;; [unrolled: 3-line block ×5, first 2 shown]
	v_dual_mul_f32 v9, v0, v1 :: v_dual_mul_f32 v0, 0xbfb8aa3b, v8
	s_delay_alu instid0(VALU_DEP_1) | instskip(NEXT) | instid1(VALU_DEP_1)
	v_rndne_f32_e32 v1, v0
	v_sub_f32_e32 v4, v0, v1
	v_fma_f32 v0, 0xbfb8aa3b, v8, -v0
	v_cvt_i32_f32_e32 v1, v1
	s_delay_alu instid0(VALU_DEP_2) | instskip(NEXT) | instid1(VALU_DEP_1)
	v_fmamk_f32 v0, v8, 0xb2a5705f, v0
	v_add_f32_e32 v0, v4, v0
	s_delay_alu instid0(VALU_DEP_1) | instskip(SKIP_1) | instid1(TRANS32_DEP_1)
	v_exp_f32_e32 v0, v0
	v_nop
	v_ldexp_f32 v0, v0, v1
	s_delay_alu instid0(VALU_DEP_1) | instskip(SKIP_1) | instid1(VALU_DEP_2)
	v_cndmask_b32_e32 v0, 0, v0, vcc_lo
	v_cmp_ngt_f32_e32 vcc_lo, 0xc2b17218, v8
	v_cndmask_b32_e32 v1, 0x7f800000, v0, vcc_lo
	v_add_f32_e32 v0, 1.0, v12
	s_delay_alu instid0(VALU_DEP_1) | instskip(NEXT) | instid1(VALU_DEP_1)
	v_div_scale_f32 v4, null, v0, v0, v12
	v_rcp_f32_e32 v5, v4
	v_nop
	s_delay_alu instid0(TRANS32_DEP_1) | instskip(NEXT) | instid1(VALU_DEP_1)
	v_fma_f32 v6, -v4, v5, 1.0
	v_fmac_f32_e32 v5, v6, v5
	v_div_scale_f32 v6, vcc_lo, v12, v0, v12
	s_delay_alu instid0(VALU_DEP_1) | instskip(NEXT) | instid1(VALU_DEP_1)
	v_mul_f32_e32 v7, v6, v5
	v_fma_f32 v13, -v4, v7, v6
	s_delay_alu instid0(VALU_DEP_1) | instskip(NEXT) | instid1(VALU_DEP_1)
	v_fmac_f32_e32 v7, v13, v5
	v_fma_f32 v4, -v4, v7, v6
	v_mov_b32_e32 v6, v8
	s_delay_alu instid0(VALU_DEP_2) | instskip(SKIP_1) | instid1(VALU_DEP_2)
	v_div_fmas_f32 v4, v4, v5, v7
	v_mov_b32_e32 v7, 0x3c8f923b
	v_div_fixup_f32 v4, v4, v0, v12
	s_delay_alu instid0(VALU_DEP_2) | instskip(NEXT) | instid1(VALU_DEP_1)
	v_pk_add_f32 v[6:7], v[8:9], v[6:7]
	v_fma_f32 v0, v6, v7, v1
	s_delay_alu instid0(VALU_DEP_1) | instskip(NEXT) | instid1(VALU_DEP_1)
	v_div_scale_f32 v5, null, 0x40400000, 0x40400000, v0
	v_rcp_f32_e32 v8, v5
	v_nop
	s_delay_alu instid0(TRANS32_DEP_1) | instskip(NEXT) | instid1(VALU_DEP_1)
	v_fma_f32 v9, -v5, v8, 1.0
	v_fmac_f32_e32 v8, v9, v8
	v_div_scale_f32 v9, vcc_lo, v0, 0x40400000, v0
	s_delay_alu instid0(VALU_DEP_1) | instskip(NEXT) | instid1(VALU_DEP_1)
	v_mul_f32_e32 v13, v9, v8
	v_fma_f32 v16, -v5, v13, v9
	s_delay_alu instid0(VALU_DEP_1) | instskip(NEXT) | instid1(VALU_DEP_1)
	v_fmac_f32_e32 v13, v16, v8
	v_fma_f32 v5, -v5, v13, v9
	s_delay_alu instid0(VALU_DEP_1) | instskip(SKIP_1) | instid1(VALU_DEP_2)
	v_div_fmas_f32 v5, v5, v8, v13
	v_pk_add_f32 v[8:9], v[2:3], 1.0 op_sel_hi:[1,0]
	v_div_fixup_f32 v0, v5, 0x40400000, v0
	s_delay_alu instid0(VALU_DEP_2) | instskip(NEXT) | instid1(VALU_DEP_2)
	v_div_scale_f32 v5, null, v9, v9, v3
	v_fmac_f32_e32 v1, v6, v0
	s_delay_alu instid0(VALU_DEP_2) | instskip(SKIP_1) | instid1(TRANS32_DEP_1)
	v_rcp_f32_e32 v13, v5
	v_dual_mov_b32 v6, v7 :: v_dual_mov_b32 v7, v0
	v_fma_f32 v16, -v5, v13, 1.0
	s_delay_alu instid0(VALU_DEP_1) | instskip(SKIP_1) | instid1(VALU_DEP_1)
	v_fmac_f32_e32 v13, v16, v13
	v_div_scale_f32 v16, vcc_lo, v3, v9, v3
	v_mul_f32_e32 v17, v16, v13
	s_delay_alu instid0(VALU_DEP_1) | instskip(NEXT) | instid1(VALU_DEP_1)
	v_fma_f32 v20, -v5, v17, v16
	v_fmac_f32_e32 v17, v20, v13
	s_delay_alu instid0(VALU_DEP_1) | instskip(NEXT) | instid1(VALU_DEP_1)
	v_fma_f32 v5, -v5, v17, v16
	v_div_fmas_f32 v5, v5, v13, v17
	s_delay_alu instid0(VALU_DEP_1) | instskip(SKIP_1) | instid1(VALU_DEP_1)
	v_div_fixup_f32 v9, v5, v9, v3
	v_div_scale_f32 v5, null, v8, v8, v2
	v_rcp_f32_e32 v13, v5
	v_nop
	s_delay_alu instid0(TRANS32_DEP_1) | instskip(NEXT) | instid1(VALU_DEP_1)
	v_fma_f32 v16, -v5, v13, 1.0
	v_fmac_f32_e32 v13, v16, v13
	v_div_scale_f32 v16, vcc_lo, v2, v8, v2
	s_delay_alu instid0(VALU_DEP_1) | instskip(NEXT) | instid1(VALU_DEP_1)
	v_mul_f32_e32 v17, v16, v13
	v_fma_f32 v20, -v5, v17, v16
	s_delay_alu instid0(VALU_DEP_1) | instskip(NEXT) | instid1(VALU_DEP_1)
	v_fmac_f32_e32 v17, v20, v13
	v_fma_f32 v5, -v5, v17, v16
	s_delay_alu instid0(VALU_DEP_1) | instskip(NEXT) | instid1(VALU_DEP_1)
	v_div_fmas_f32 v5, v5, v13, v17
	v_div_fixup_f32 v8, v5, v8, v2
	s_delay_alu instid0(VALU_DEP_1) | instskip(SKIP_1) | instid1(VALU_DEP_2)
	v_pk_add_f32 v[20:21], v[4:5], v[8:9] op_sel_hi:[0,1] neg_lo:[0,1] neg_hi:[0,1]
	v_pk_fma_f32 v[6:7], v[8:9], v[0:1], v[6:7] op_sel_hi:[0,1,1] neg_lo:[1,0,0] neg_hi:[1,0,0]
	v_mov_b32_e32 v5, v20
	s_delay_alu instid0(VALU_DEP_2) | instskip(NEXT) | instid1(VALU_DEP_2)
	v_pk_mul_f32 v[16:17], v[8:9], v[6:7]
	v_pk_mul_f32 v[98:99], v[20:21], v[4:5]
	v_dual_mov_b32 v5, v8 :: v_dual_mov_b32 v20, v7
	s_delay_alu instid0(VALU_DEP_3) | instskip(NEXT) | instid1(VALU_DEP_2)
	v_mov_b32_e32 v7, v17
	v_pk_add_f32 v[8:9], v[8:9], v[4:5] neg_lo:[0,1] neg_hi:[0,1]
	s_delay_alu instid0(VALU_DEP_1) | instskip(NEXT) | instid1(VALU_DEP_1)
	v_dual_mov_b32 v5, v9 :: v_dual_mov_b32 v9, v6
	v_pk_mul_f32 v[4:5], v[4:5], v[20:21]
	s_delay_alu instid0(VALU_DEP_1) | instskip(NEXT) | instid1(VALU_DEP_1)
	v_mov_b32_e32 v8, v4
	v_pk_add_f32 v[6:7], v[8:9], v[6:7] neg_lo:[0,1] neg_hi:[0,1]
	s_delay_alu instid0(VALU_DEP_1) | instskip(NEXT) | instid1(VALU_DEP_1)
	v_div_scale_f32 v0, null, v99, v99, v7
	v_rcp_f32_e32 v4, v0
	v_nop
	s_delay_alu instid0(TRANS32_DEP_1) | instskip(NEXT) | instid1(VALU_DEP_1)
	v_fma_f32 v8, -v0, v4, 1.0
	v_fmac_f32_e32 v4, v8, v4
	v_div_scale_f32 v8, vcc_lo, v7, v99, v7
	s_delay_alu instid0(VALU_DEP_1) | instskip(NEXT) | instid1(VALU_DEP_1)
	v_mul_f32_e32 v9, v8, v4
	v_fma_f32 v13, -v0, v9, v8
	s_delay_alu instid0(VALU_DEP_1) | instskip(NEXT) | instid1(VALU_DEP_1)
	v_fmac_f32_e32 v9, v13, v4
	v_fma_f32 v0, -v0, v9, v8
	s_delay_alu instid0(VALU_DEP_1) | instskip(NEXT) | instid1(VALU_DEP_1)
	v_div_fmas_f32 v0, v0, v4, v9
	v_div_fixup_f32 v7, v0, v99, v7
	v_div_scale_f32 v0, null, v5, v5, v6
	s_delay_alu instid0(VALU_DEP_1) | instskip(SKIP_1) | instid1(TRANS32_DEP_1)
	v_rcp_f32_e32 v4, v0
	v_nop
	v_fma_f32 v8, -v0, v4, 1.0
	s_delay_alu instid0(VALU_DEP_1) | instskip(SKIP_1) | instid1(VALU_DEP_1)
	v_fmac_f32_e32 v4, v8, v4
	v_div_scale_f32 v8, vcc_lo, v6, v5, v6
	v_mul_f32_e32 v9, v8, v4
	s_delay_alu instid0(VALU_DEP_1) | instskip(NEXT) | instid1(VALU_DEP_1)
	v_fma_f32 v13, -v0, v9, v8
	v_fmac_f32_e32 v9, v13, v4
	s_delay_alu instid0(VALU_DEP_1) | instskip(NEXT) | instid1(VALU_DEP_1)
	v_fma_f32 v0, -v0, v9, v8
	v_div_fmas_f32 v0, v0, v4, v9
	s_delay_alu instid0(VALU_DEP_1) | instskip(NEXT) | instid1(VALU_DEP_1)
	v_div_fixup_f32 v5, v0, v5, v6
	v_sub_f32_e32 v0, v1, v5
	s_delay_alu instid0(VALU_DEP_1)
	v_sub_f32_e32 v1, v0, v7
.LBB0_165:
	s_or_b32 exec_lo, exec_lo, s7
                                        ; implicit-def: $vgpr0
                                        ; implicit-def: $vgpr8
.LBB0_166:
	s_and_not1_saveexec_b32 s2, s2
	s_cbranch_execz .LBB0_168
; %bb.167:
	s_mov_b32 s7, 0xaf4685e4
	s_mov_b32 s8, 0xade6db4a
	v_fmaak_f32 v3, s7, v0, 0x30158db2
	v_mov_b32_e32 v2, 0x2c90ce0a
	v_fmaak_f32 v5, s8, v0, 0x2fb22351
	v_cmp_nlt_f32_e32 vcc_lo, 0x42ce8ed0, v8
	v_mov_b32_e32 v1, 0x3289bd4b
	s_mov_b32 s8, 0x2c90ce0a
	v_mul_f32_e32 v9, 0xbfb8aa3b, v8
	v_mov_b64_e32 v[6:7], s[8:9]
	v_mov_b32_e32 v4, 0x2e9c54b0
	v_pk_fma_f32 v[2:3], v[0:1], v[2:3], v[0:1] op_sel_hi:[0,1,1]
	v_fmaak_f32 v1, v0, v5, 0xb1786b26
	v_mov_b64_e32 v[12:13], 0xb420d855b0ee7801
	s_delay_alu instid0(VALU_DEP_2) | instskip(NEXT) | instid1(VALU_DEP_4)
	v_pk_fma_f32 v[4:5], v[0:1], v[6:7], v[4:5] neg_lo:[1,0,0] neg_hi:[1,0,0]
	v_mov_b32_e32 v5, v3
	v_fmaak_f32 v1, v0, v1, 0x33218076
	v_mov_b64_e32 v[2:3], 0xb53c5c79337eb864
	v_mov_b64_e32 v[6:7], 0x379bedffb583020c
	s_delay_alu instid0(VALU_DEP_3) | instskip(SKIP_3) | instid1(VALU_DEP_3)
	v_pk_fma_f32 v[4:5], v[0:1], v[4:5], v[12:13] op_sel_hi:[0,1,1]
	v_fmaak_f32 v1, v0, v1, 0xb4bec7bc
	v_rndne_f32_e32 v12, v9
	v_fma_f32 v13, 0xbfb8aa3b, v8, -v9
	v_pk_fma_f32 v[2:3], v[0:1], v[4:5], v[2:3] op_sel_hi:[0,1,1]
	v_fmaak_f32 v1, v0, v1, 0x364ad720
	v_mov_b64_e32 v[4:5], 0xb7abb3dc373601b0
	v_sub_f32_e32 v9, v9, v12
	v_fmamk_f32 v13, v8, 0xb2a5705f, v13
	v_cvt_i32_f32_e32 v12, v12
	v_pk_fma_f32 v[2:3], v[0:1], v[2:3], v[6:7] op_sel_hi:[0,1,1]
	v_fmaak_f32 v1, v0, v1, 0xb7c01b80
	v_mov_b64_e32 v[6:7], 0xbb236640b8ec27f6
	v_add_f32_e32 v9, v9, v13
	s_delay_alu instid0(VALU_DEP_3) | instskip(SKIP_2) | instid1(VALU_DEP_2)
	v_pk_fma_f32 v[2:3], v[0:1], v[2:3], v[4:5] op_sel_hi:[0,1,1]
	v_fmaak_f32 v1, v0, v1, 0x392011ae
	v_mov_b64_e32 v[4:5], 0x3d120b0d3a9851e9
	v_pk_fma_f32 v[2:3], v[0:1], v[2:3], v[6:7] op_sel_hi:[0,1,1]
	v_fmaak_f32 v1, v0, v1, 0xba67327d
	v_mov_b64_e32 v[6:7], 0xbe85556fbc2221af
	s_delay_alu instid0(VALU_DEP_2) | instskip(SKIP_2) | instid1(VALU_DEP_2)
	v_pk_fma_f32 v[2:3], v[0:1], v[2:3], v[4:5] op_sel_hi:[0,1,1]
	v_fmaak_f32 v1, v0, v1, 0x3b8df41e
	v_mov_b64_e32 v[4:5], 0x3f8f8f0b3d7aeab0
	v_pk_fma_f32 v[2:3], v[0:1], v[2:3], v[6:7] op_sel_hi:[0,1,1]
	v_add_f32_e32 v7, v8, v8
	v_exp_f32_e32 v9, v9
	v_fmaak_f32 v1, v0, v1, 0xbc8f923b
	s_delay_alu instid0(VALU_DEP_1) | instskip(NEXT) | instid1(TRANS32_DEP_1)
	v_pk_fma_f32 v[2:3], v[0:1], v[2:3], v[4:5] op_sel_hi:[0,1,1]
	v_ldexp_f32 v6, v9, v12
	v_mov_b64_e32 v[4:5], 0x3d586f6b3f800000
	s_delay_alu instid0(VALU_DEP_2) | instskip(SKIP_2) | instid1(VALU_DEP_3)
	v_dual_mov_b32 v12, 0 :: v_dual_cndmask_b32 v6, 0, v6, vcc_lo
	v_cmp_ngt_f32_e32 vcc_lo, 0xc2b17218, v8
	v_dual_mul_f32 v1, v0, v1 :: v_dual_mov_b32 v0, v3
	v_cndmask_b32_e32 v6, 0x7f800000, v6, vcc_lo
	s_delay_alu instid0(VALU_DEP_2) | instskip(NEXT) | instid1(VALU_DEP_1)
	v_pk_add_f32 v[0:1], v[0:1], v[4:5]
	v_fmac_f32_e32 v6, v7, v1
	s_delay_alu instid0(VALU_DEP_1) | instskip(NEXT) | instid1(VALU_DEP_1)
	v_sub_f32_e32 v4, v1, v6
	v_dual_fma_f32 v1, v2, v4, v1 :: v_dual_sub_f32 v4, v3, v2
	s_delay_alu instid0(VALU_DEP_1) | instskip(NEXT) | instid1(VALU_DEP_1)
	v_mul_f32_e32 v0, v0, v1
	v_div_scale_f32 v1, null, v4, v4, v0
	v_div_scale_f32 v8, vcc_lo, v0, v4, v0
	s_delay_alu instid0(VALU_DEP_2) | instskip(SKIP_1) | instid1(TRANS32_DEP_1)
	v_rcp_f32_e32 v5, v1
	v_nop
	v_fma_f32 v7, -v1, v5, 1.0
	s_delay_alu instid0(VALU_DEP_1) | instskip(NEXT) | instid1(VALU_DEP_1)
	v_fmac_f32_e32 v5, v7, v5
	v_mul_f32_e32 v7, v8, v5
	s_delay_alu instid0(VALU_DEP_1) | instskip(NEXT) | instid1(VALU_DEP_1)
	v_fma_f32 v9, -v1, v7, v8
	v_fmac_f32_e32 v7, v9, v5
	s_delay_alu instid0(VALU_DEP_1) | instskip(NEXT) | instid1(VALU_DEP_1)
	v_fma_f32 v1, -v1, v7, v8
	v_div_fmas_f32 v1, v1, v5, v7
	v_mov_b32_e32 v7, 0
	s_delay_alu instid0(VALU_DEP_2) | instskip(NEXT) | instid1(VALU_DEP_1)
	v_div_fixup_f32 v5, v1, v4, v0
	v_sub_f32_e32 v1, v6, v5
.LBB0_168:
	s_or_b32 exec_lo, exec_lo, s2
                                        ; implicit-def: $vgpr0
                                        ; implicit-def: $vgpr8
.LBB0_169:
	s_and_not1_saveexec_b32 s1, s1
	s_cbranch_execz .LBB0_173
; %bb.170:
	v_mov_b64_e32 v[2:3], 0
	v_dual_mov_b32 v5, 0 :: v_dual_mov_b32 v1, 0
	s_mov_b32 s2, exec_lo
	v_cmpx_eq_u32_e32 0, v32
	s_cbranch_execz .LBB0_172
; %bb.171:
	v_mul_f32_e32 v2, 0xbfb8aa3b, v8
	s_mov_b32 s7, 0xade6db4a
	v_cmp_nlt_f32_e32 vcc_lo, 0x42ce8ed0, v8
	s_delay_alu instid0(VALU_DEP_2) | instskip(SKIP_1) | instid1(VALU_DEP_2)
	v_rndne_f32_e32 v3, v2
	v_fma_f32 v4, 0xbfb8aa3b, v8, -v2
	v_dual_fmaak_f32 v1, s7, v0, 0x2fb22351 :: v_dual_sub_f32 v2, v2, v3
	s_delay_alu instid0(VALU_DEP_2) | instskip(NEXT) | instid1(VALU_DEP_2)
	v_fmamk_f32 v4, v8, 0xb2a5705f, v4
	v_fmaak_f32 v1, v0, v1, 0xb1786b26
	v_cvt_i32_f32_e32 v3, v3
	s_delay_alu instid0(VALU_DEP_3) | instskip(NEXT) | instid1(VALU_DEP_1)
	v_add_f32_e32 v2, v2, v4
	v_exp_f32_e32 v2, v2
	v_nop
	s_delay_alu instid0(TRANS32_DEP_1) | instskip(SKIP_2) | instid1(VALU_DEP_2)
	v_ldexp_f32 v4, v2, v3
	v_fmaak_f32 v1, v0, v1, 0x33218076
	v_dual_mov_b32 v3, 0x3d586f6b :: v_dual_mov_b32 v2, v8
	v_dual_cndmask_b32 v4, 0, v4 :: v_dual_fmaak_f32 v1, v0, v1, 0xb4bec7bc
	v_cmp_ngt_f32_e32 vcc_lo, 0xc2b17218, v8
	s_delay_alu instid0(VALU_DEP_2) | instskip(NEXT) | instid1(VALU_DEP_1)
	v_fmaak_f32 v1, v0, v1, 0x364ad720
	v_fmaak_f32 v1, v0, v1, 0xb7c01b80
	s_delay_alu instid0(VALU_DEP_1) | instskip(NEXT) | instid1(VALU_DEP_1)
	v_fmaak_f32 v1, v0, v1, 0x392011ae
	v_fmaak_f32 v1, v0, v1, 0xba67327d
	s_delay_alu instid0(VALU_DEP_1) | instskip(NEXT) | instid1(VALU_DEP_1)
	v_fmaak_f32 v1, v0, v1, 0x3b8df41e
	v_fmaak_f32 v1, v0, v1, 0xbc8f923b
	s_delay_alu instid0(VALU_DEP_1) | instskip(SKIP_1) | instid1(VALU_DEP_2)
	v_mul_f32_e32 v9, v0, v1
	v_cndmask_b32_e32 v1, 0x7f800000, v4, vcc_lo
	v_pk_add_f32 v[2:3], v[8:9], v[2:3]
	s_delay_alu instid0(VALU_DEP_1) | instskip(NEXT) | instid1(VALU_DEP_1)
	v_fmac_f32_e32 v1, v2, v3
	v_sub_f32_e32 v0, v1, v3
	s_delay_alu instid0(VALU_DEP_1) | instskip(SKIP_1) | instid1(VALU_DEP_2)
	v_div_scale_f32 v2, null, v0, v0, v3
	v_div_scale_f32 v7, vcc_lo, v3, v0, v3
	v_rcp_f32_e32 v4, v2
	v_nop
	s_delay_alu instid0(TRANS32_DEP_1) | instskip(NEXT) | instid1(VALU_DEP_1)
	v_fma_f32 v6, -v2, v4, 1.0
	v_fmac_f32_e32 v4, v6, v4
	s_delay_alu instid0(VALU_DEP_1) | instskip(NEXT) | instid1(VALU_DEP_1)
	v_mul_f32_e32 v6, v7, v4
	v_fma_f32 v8, -v2, v6, v7
	s_delay_alu instid0(VALU_DEP_1) | instskip(NEXT) | instid1(VALU_DEP_1)
	v_fmac_f32_e32 v6, v8, v4
	v_fma_f32 v2, -v2, v6, v7
	s_delay_alu instid0(VALU_DEP_1) | instskip(NEXT) | instid1(VALU_DEP_1)
	v_div_fmas_f32 v2, v2, v4, v6
	v_div_fixup_f32 v2, v2, v0, v3
	v_mov_b32_e32 v3, 0
.LBB0_172:
	s_or_b32 exec_lo, exec_lo, s2
	v_dual_mov_b32 v7, 0 :: v_dual_mov_b32 v12, 0
.LBB0_173:
	s_or_b32 exec_lo, exec_lo, s1
	s_delay_alu instid0(SALU_CYCLE_1)
	s_or_b32 exec_lo, exec_lo, s0
                                        ; implicit-def: $vgpr8
.LBB0_174:
	s_and_not1_saveexec_b32 s0, s6
	s_cbranch_execz .LBB0_467
.LBB0_175:
	v_add_f32_e32 v0, -2.0, v8
	s_mov_b32 s1, exec_lo
                                        ; implicit-def: $vgpr5
                                        ; implicit-def: $vgpr1
                                        ; implicit-def: $vgpr2_vgpr3
                                        ; implicit-def: $vgpr7
                                        ; implicit-def: $vgpr12
	v_cmpx_lt_i32_e32 0, v32
	s_xor_b32 s1, exec_lo, s1
	s_cbranch_execz .LBB0_183
; %bb.176:
	s_mov_b32 s2, exec_lo
                                        ; implicit-def: $vgpr5
                                        ; implicit-def: $vgpr1
                                        ; implicit-def: $vgpr2_vgpr3
                                        ; implicit-def: $vgpr7
                                        ; implicit-def: $vgpr12
	v_cmpx_lt_i32_e32 1, v32
	s_xor_b32 s2, exec_lo, s2
	s_cbranch_execz .LBB0_180
; %bb.177:
	v_mov_b64_e32 v[2:3], 0
	v_dual_mov_b32 v5, 0 :: v_dual_mov_b32 v1, 0
	v_dual_mov_b32 v7, 0 :: v_dual_mov_b32 v12, 0
	s_mov_b32 s6, exec_lo
	v_cmpx_eq_u32_e32 2, v32
	s_cbranch_execz .LBB0_179
; %bb.178:
	s_mov_b32 s7, 0x2bcba156
	v_mov_b64_e32 v[4:5], 0xb1b7ebe3b0341271
	v_fmaak_f32 v2, s7, v0, 0x2caabff3
	v_mov_b32_e32 v3, 0x303f4e21
	s_mov_b32 s7, 0xaf9ac11f
	v_cmp_nlt_f32_e32 vcc_lo, 0x42ce8ed0, v8
	s_delay_alu instid0(VALU_DEP_2) | instskip(SKIP_1) | instid1(VALU_DEP_1)
	v_pk_fma_f32 v[2:3], v[0:1], v[2:3], v[4:5] op_sel_hi:[0,1,1]
	v_mov_b64_e32 v[4:5], 0xb390da2932868327
	v_pk_fma_f32 v[2:3], v[0:1], v[2:3], v[4:5] op_sel_hi:[0,1,1]
	v_mov_b64_e32 v[4:5], 0x35c9a4eeb48ba6f7
	s_delay_alu instid0(VALU_DEP_1) | instskip(SKIP_1) | instid1(VALU_DEP_1)
	v_pk_fma_f32 v[2:3], v[0:1], v[2:3], v[4:5] op_sel_hi:[0,1,1]
	v_mov_b64_e32 v[4:5], 0x3585304b36818f53
	v_pk_fma_f32 v[2:3], v[0:1], v[2:3], v[4:5] op_sel_hi:[0,1,1]
	v_mov_b64_e32 v[4:5], 0xb9cc067db857593b
	s_delay_alu instid0(VALU_DEP_1) | instskip(SKIP_1) | instid1(VALU_DEP_1)
	;; [unrolled: 5-line block ×3, first 2 shown]
	v_pk_fma_f32 v[2:3], v[0:1], v[2:3], v[4:5] op_sel_hi:[0,1,1]
	v_mov_b64_e32 v[4:5], 0x3f12ecf63d396045
	v_pk_fma_f32 v[2:3], v[0:1], v[2:3], v[4:5] op_sel_hi:[0,1,1]
	v_fmaak_f32 v1, s7, v0, 0x31781e01
	s_mov_b32 s7, 0xaf22c6bf
	s_delay_alu instid0(VALU_DEP_1) | instskip(NEXT) | instid1(VALU_DEP_1)
	v_fmaak_f32 v1, v0, v1, 0x3342d558
	v_fmaak_f32 v1, v0, v1, 0xb4175e0b
	s_delay_alu instid0(VALU_DEP_1) | instskip(NEXT) | instid1(VALU_DEP_1)
	v_fmaak_f32 v1, v0, v1, 0xb6cb4b75
	v_fmaak_f32 v1, v0, v1, 0xb8586938
	;; [unrolled: 3-line block ×4, first 2 shown]
	v_fmaak_f32 v1, s7, v0, 0x30f4db6f
	s_delay_alu instid0(VALU_DEP_1) | instskip(NEXT) | instid1(VALU_DEP_1)
	v_fmaak_f32 v1, v0, v1, 0xb2a55e4f
	v_fmaak_f32 v1, v0, v1, 0x344f05bc
	s_delay_alu instid0(VALU_DEP_1) | instskip(NEXT) | instid1(VALU_DEP_1)
	v_fmaak_f32 v1, v0, v1, 0xb5e9477a
	;; [unrolled: 3-line block ×5, first 2 shown]
	v_dual_mul_f32 v9, v0, v1 :: v_dual_mul_f32 v0, 0xbfb8aa3b, v8
	s_delay_alu instid0(VALU_DEP_1) | instskip(NEXT) | instid1(VALU_DEP_1)
	v_rndne_f32_e32 v1, v0
	v_sub_f32_e32 v4, v0, v1
	v_fma_f32 v0, 0xbfb8aa3b, v8, -v0
	v_cvt_i32_f32_e32 v1, v1
	s_delay_alu instid0(VALU_DEP_2) | instskip(NEXT) | instid1(VALU_DEP_1)
	v_fmamk_f32 v0, v8, 0xb2a5705f, v0
	v_add_f32_e32 v0, v4, v0
	s_delay_alu instid0(VALU_DEP_1) | instskip(SKIP_1) | instid1(TRANS32_DEP_1)
	v_exp_f32_e32 v0, v0
	v_nop
	v_ldexp_f32 v0, v0, v1
	s_delay_alu instid0(VALU_DEP_1) | instskip(SKIP_1) | instid1(VALU_DEP_2)
	v_cndmask_b32_e32 v0, 0, v0, vcc_lo
	v_cmp_ngt_f32_e32 vcc_lo, 0xc2b17218, v8
	v_cndmask_b32_e32 v1, 0x7f800000, v0, vcc_lo
	v_add_f32_e32 v0, 1.0, v12
	s_delay_alu instid0(VALU_DEP_1) | instskip(NEXT) | instid1(VALU_DEP_1)
	v_div_scale_f32 v4, null, v0, v0, v12
	v_rcp_f32_e32 v5, v4
	v_nop
	s_delay_alu instid0(TRANS32_DEP_1) | instskip(NEXT) | instid1(VALU_DEP_1)
	v_fma_f32 v6, -v4, v5, 1.0
	v_fmac_f32_e32 v5, v6, v5
	v_div_scale_f32 v6, vcc_lo, v12, v0, v12
	s_delay_alu instid0(VALU_DEP_1) | instskip(NEXT) | instid1(VALU_DEP_1)
	v_mul_f32_e32 v7, v6, v5
	v_fma_f32 v13, -v4, v7, v6
	s_delay_alu instid0(VALU_DEP_1) | instskip(NEXT) | instid1(VALU_DEP_1)
	v_fmac_f32_e32 v7, v13, v5
	v_fma_f32 v4, -v4, v7, v6
	v_mov_b32_e32 v6, v8
	s_delay_alu instid0(VALU_DEP_2) | instskip(SKIP_1) | instid1(VALU_DEP_2)
	v_div_fmas_f32 v4, v4, v5, v7
	v_mov_b32_e32 v7, 0x3d58da91
	v_div_fixup_f32 v4, v4, v0, v12
	s_delay_alu instid0(VALU_DEP_2) | instskip(NEXT) | instid1(VALU_DEP_1)
	v_pk_add_f32 v[6:7], v[8:9], v[6:7]
	v_fma_f32 v0, v6, v7, v1
	s_delay_alu instid0(VALU_DEP_1) | instskip(NEXT) | instid1(VALU_DEP_1)
	v_div_scale_f32 v5, null, 0x40400000, 0x40400000, v0
	v_rcp_f32_e32 v8, v5
	v_nop
	s_delay_alu instid0(TRANS32_DEP_1) | instskip(NEXT) | instid1(VALU_DEP_1)
	v_fma_f32 v9, -v5, v8, 1.0
	v_fmac_f32_e32 v8, v9, v8
	v_div_scale_f32 v9, vcc_lo, v0, 0x40400000, v0
	s_delay_alu instid0(VALU_DEP_1) | instskip(NEXT) | instid1(VALU_DEP_1)
	v_mul_f32_e32 v13, v9, v8
	v_fma_f32 v16, -v5, v13, v9
	s_delay_alu instid0(VALU_DEP_1) | instskip(NEXT) | instid1(VALU_DEP_1)
	v_fmac_f32_e32 v13, v16, v8
	v_fma_f32 v5, -v5, v13, v9
	s_delay_alu instid0(VALU_DEP_1) | instskip(SKIP_1) | instid1(VALU_DEP_2)
	v_div_fmas_f32 v5, v5, v8, v13
	v_pk_add_f32 v[8:9], v[2:3], 1.0 op_sel_hi:[1,0]
	v_div_fixup_f32 v0, v5, 0x40400000, v0
	s_delay_alu instid0(VALU_DEP_2) | instskip(NEXT) | instid1(VALU_DEP_2)
	v_div_scale_f32 v5, null, v9, v9, v3
	v_fmac_f32_e32 v1, v6, v0
	s_delay_alu instid0(VALU_DEP_2) | instskip(SKIP_1) | instid1(TRANS32_DEP_1)
	v_rcp_f32_e32 v13, v5
	v_dual_mov_b32 v6, v7 :: v_dual_mov_b32 v7, v0
	v_fma_f32 v16, -v5, v13, 1.0
	s_delay_alu instid0(VALU_DEP_1) | instskip(SKIP_1) | instid1(VALU_DEP_1)
	v_fmac_f32_e32 v13, v16, v13
	v_div_scale_f32 v16, vcc_lo, v3, v9, v3
	v_mul_f32_e32 v17, v16, v13
	s_delay_alu instid0(VALU_DEP_1) | instskip(NEXT) | instid1(VALU_DEP_1)
	v_fma_f32 v20, -v5, v17, v16
	v_fmac_f32_e32 v17, v20, v13
	s_delay_alu instid0(VALU_DEP_1) | instskip(NEXT) | instid1(VALU_DEP_1)
	v_fma_f32 v5, -v5, v17, v16
	v_div_fmas_f32 v5, v5, v13, v17
	s_delay_alu instid0(VALU_DEP_1) | instskip(SKIP_1) | instid1(VALU_DEP_1)
	v_div_fixup_f32 v9, v5, v9, v3
	v_div_scale_f32 v5, null, v8, v8, v2
	v_rcp_f32_e32 v13, v5
	v_nop
	s_delay_alu instid0(TRANS32_DEP_1) | instskip(NEXT) | instid1(VALU_DEP_1)
	v_fma_f32 v16, -v5, v13, 1.0
	v_fmac_f32_e32 v13, v16, v13
	v_div_scale_f32 v16, vcc_lo, v2, v8, v2
	s_delay_alu instid0(VALU_DEP_1) | instskip(NEXT) | instid1(VALU_DEP_1)
	v_mul_f32_e32 v17, v16, v13
	v_fma_f32 v20, -v5, v17, v16
	s_delay_alu instid0(VALU_DEP_1) | instskip(NEXT) | instid1(VALU_DEP_1)
	v_fmac_f32_e32 v17, v20, v13
	v_fma_f32 v5, -v5, v17, v16
	s_delay_alu instid0(VALU_DEP_1) | instskip(NEXT) | instid1(VALU_DEP_1)
	v_div_fmas_f32 v5, v5, v13, v17
	v_div_fixup_f32 v8, v5, v8, v2
	s_delay_alu instid0(VALU_DEP_1) | instskip(SKIP_1) | instid1(VALU_DEP_2)
	v_pk_add_f32 v[20:21], v[4:5], v[8:9] op_sel_hi:[0,1] neg_lo:[0,1] neg_hi:[0,1]
	v_pk_fma_f32 v[6:7], v[8:9], v[0:1], v[6:7] op_sel_hi:[0,1,1] neg_lo:[1,0,0] neg_hi:[1,0,0]
	v_mov_b32_e32 v5, v20
	s_delay_alu instid0(VALU_DEP_2) | instskip(NEXT) | instid1(VALU_DEP_2)
	v_pk_mul_f32 v[16:17], v[8:9], v[6:7]
	v_pk_mul_f32 v[98:99], v[20:21], v[4:5]
	v_dual_mov_b32 v5, v8 :: v_dual_mov_b32 v20, v7
	s_delay_alu instid0(VALU_DEP_3) | instskip(NEXT) | instid1(VALU_DEP_2)
	v_mov_b32_e32 v7, v17
	v_pk_add_f32 v[8:9], v[8:9], v[4:5] neg_lo:[0,1] neg_hi:[0,1]
	s_delay_alu instid0(VALU_DEP_1) | instskip(NEXT) | instid1(VALU_DEP_1)
	v_dual_mov_b32 v5, v9 :: v_dual_mov_b32 v9, v6
	v_pk_mul_f32 v[4:5], v[4:5], v[20:21]
	s_delay_alu instid0(VALU_DEP_1) | instskip(NEXT) | instid1(VALU_DEP_1)
	v_mov_b32_e32 v8, v4
	v_pk_add_f32 v[6:7], v[8:9], v[6:7] neg_lo:[0,1] neg_hi:[0,1]
	s_delay_alu instid0(VALU_DEP_1) | instskip(NEXT) | instid1(VALU_DEP_1)
	v_div_scale_f32 v0, null, v99, v99, v7
	v_rcp_f32_e32 v4, v0
	v_nop
	s_delay_alu instid0(TRANS32_DEP_1) | instskip(NEXT) | instid1(VALU_DEP_1)
	v_fma_f32 v8, -v0, v4, 1.0
	v_fmac_f32_e32 v4, v8, v4
	v_div_scale_f32 v8, vcc_lo, v7, v99, v7
	s_delay_alu instid0(VALU_DEP_1) | instskip(NEXT) | instid1(VALU_DEP_1)
	v_mul_f32_e32 v9, v8, v4
	v_fma_f32 v13, -v0, v9, v8
	s_delay_alu instid0(VALU_DEP_1) | instskip(NEXT) | instid1(VALU_DEP_1)
	v_fmac_f32_e32 v9, v13, v4
	v_fma_f32 v0, -v0, v9, v8
	s_delay_alu instid0(VALU_DEP_1) | instskip(NEXT) | instid1(VALU_DEP_1)
	v_div_fmas_f32 v0, v0, v4, v9
	v_div_fixup_f32 v7, v0, v99, v7
	v_div_scale_f32 v0, null, v5, v5, v6
	s_delay_alu instid0(VALU_DEP_1) | instskip(SKIP_1) | instid1(TRANS32_DEP_1)
	v_rcp_f32_e32 v4, v0
	v_nop
	v_fma_f32 v8, -v0, v4, 1.0
	s_delay_alu instid0(VALU_DEP_1) | instskip(SKIP_1) | instid1(VALU_DEP_1)
	v_fmac_f32_e32 v4, v8, v4
	v_div_scale_f32 v8, vcc_lo, v6, v5, v6
	v_mul_f32_e32 v9, v8, v4
	s_delay_alu instid0(VALU_DEP_1) | instskip(NEXT) | instid1(VALU_DEP_1)
	v_fma_f32 v13, -v0, v9, v8
	v_fmac_f32_e32 v9, v13, v4
	s_delay_alu instid0(VALU_DEP_1) | instskip(NEXT) | instid1(VALU_DEP_1)
	v_fma_f32 v0, -v0, v9, v8
	v_div_fmas_f32 v0, v0, v4, v9
	s_delay_alu instid0(VALU_DEP_1) | instskip(NEXT) | instid1(VALU_DEP_1)
	v_div_fixup_f32 v5, v0, v5, v6
	v_sub_f32_e32 v0, v1, v5
	s_delay_alu instid0(VALU_DEP_1)
	v_sub_f32_e32 v1, v0, v7
.LBB0_179:
	s_or_b32 exec_lo, exec_lo, s6
                                        ; implicit-def: $vgpr0
                                        ; implicit-def: $vgpr8
.LBB0_180:
	s_and_not1_saveexec_b32 s2, s2
	s_cbranch_execz .LBB0_182
; %bb.181:
	v_mov_b64_e32 v[2:3], 0x2f1fcb232ce01337
	v_cmp_nlt_f32_e32 vcc_lo, 0x42ce8ed0, v8
	v_mov_b32_e32 v1, 0x310e536f
	s_mov_b32 s6, 0xaf31cb49
	v_mov_b64_e32 v[12:13], 0xb2a165e8b00d9f71
	v_mul_f32_e32 v9, 0xbfb8aa3b, v8
	s_delay_alu instid0(VALU_DEP_3) | instskip(SKIP_2) | instid1(VALU_DEP_1)
	v_pk_fma_f32 v[6:7], v[0:1], v[2:3], v[0:1] op_sel_hi:[0,1,1]
	v_mov_b32_e32 v4, 0x2eba5957
	v_fmaak_f32 v1, s6, v0, 0x3106d68d
	v_pk_fma_f32 v[2:3], v[0:1], v[2:3], v[4:5] neg_lo:[1,0,0] neg_hi:[1,0,0]
	s_delay_alu instid0(VALU_DEP_4) | instskip(SKIP_3) | instid1(VALU_DEP_3)
	v_mov_b32_e32 v3, v7
	v_fmaak_f32 v1, v0, v1, 0xb2b806a8
	v_mov_b64_e32 v[4:5], 0xb4394f7dafd37520
	v_mov_b64_e32 v[6:7], 0x3616d1dc33b5f0b5
	v_pk_fma_f32 v[2:3], v[0:1], v[2:3], v[12:13] op_sel_hi:[0,1,1]
	v_rndne_f32_e32 v12, v9
	v_fma_f32 v13, 0xbfb8aa3b, v8, -v9
	v_fmaak_f32 v1, v0, v1, 0x34693c08
	s_delay_alu instid0(VALU_DEP_3) | instskip(NEXT) | instid1(VALU_DEP_3)
	v_sub_f32_e32 v9, v9, v12
	v_fmamk_f32 v13, v8, 0xb2a5705f, v13
	v_cvt_i32_f32_e32 v12, v12
	s_delay_alu instid0(VALU_DEP_2) | instskip(NEXT) | instid1(VALU_DEP_1)
	v_add_f32_e32 v9, v9, v13
	v_exp_f32_e32 v9, v9
	v_nop
	s_delay_alu instid0(TRANS32_DEP_1) | instskip(SKIP_4) | instid1(VALU_DEP_2)
	v_ldexp_f32 v9, v9, v12
	v_mov_b32_e32 v12, 0
	v_pk_fma_f32 v[2:3], v[0:1], v[2:3], v[4:5] op_sel_hi:[0,1,1]
	v_fmaak_f32 v1, v0, v1, 0xb6057233
	v_mov_b64_e32 v[4:5], 0x3723e08cb5f8b6ab
	v_pk_fma_f32 v[2:3], v[0:1], v[2:3], v[6:7] op_sel_hi:[0,1,1]
	v_fmaak_f32 v1, v0, v1, 0x3788416e
	v_mov_b64_e32 v[6:7], 0xb94a8b3337cf5c03
	s_delay_alu instid0(VALU_DEP_2) | instskip(SKIP_2) | instid1(VALU_DEP_2)
	v_pk_fma_f32 v[2:3], v[0:1], v[2:3], v[4:5] op_sel_hi:[0,1,1]
	v_fmaak_f32 v1, v0, v1, 0xb8f4d278
	v_mov_b64_e32 v[4:5], 0xbacf2d86b9828eac
	v_pk_fma_f32 v[2:3], v[0:1], v[2:3], v[6:7] op_sel_hi:[0,1,1]
	v_fmaak_f32 v1, v0, v1, 0x3a3e0676
	v_mov_b64_e32 v[6:7], 0x3d4709433b0fa32a
	s_delay_alu instid0(VALU_DEP_2) | instskip(SKIP_2) | instid1(VALU_DEP_2)
	;; [unrolled: 7-line block ×3, first 2 shown]
	v_pk_fma_f32 v[2:3], v[0:1], v[2:3], v[4:5] op_sel_hi:[0,1,1]
	v_fmaak_f32 v1, v0, v1, 0xbd58da91
	v_mov_b64_e32 v[4:5], 0x3decf5443f800000
	v_pk_fma_f32 v[2:3], v[0:1], v[2:3], v[6:7] op_sel_hi:[0,1,1]
	v_cndmask_b32_e32 v6, 0, v9, vcc_lo
	v_mul_f32_e32 v1, v0, v1
	v_cmp_ngt_f32_e32 vcc_lo, 0xc2b17218, v8
	s_delay_alu instid0(VALU_DEP_4) | instskip(NEXT) | instid1(VALU_DEP_4)
	v_dual_add_f32 v7, v8, v8 :: v_dual_mov_b32 v0, v3
	v_cndmask_b32_e32 v6, 0x7f800000, v6, vcc_lo
	s_delay_alu instid0(VALU_DEP_2) | instskip(NEXT) | instid1(VALU_DEP_1)
	v_pk_add_f32 v[0:1], v[0:1], v[4:5]
	v_fmac_f32_e32 v6, v7, v1
	s_delay_alu instid0(VALU_DEP_1) | instskip(NEXT) | instid1(VALU_DEP_1)
	v_sub_f32_e32 v4, v1, v6
	v_dual_fma_f32 v1, v2, v4, v1 :: v_dual_sub_f32 v4, v3, v2
	s_delay_alu instid0(VALU_DEP_1) | instskip(NEXT) | instid1(VALU_DEP_1)
	v_mul_f32_e32 v0, v0, v1
	v_div_scale_f32 v1, null, v4, v4, v0
	v_div_scale_f32 v8, vcc_lo, v0, v4, v0
	s_delay_alu instid0(VALU_DEP_2) | instskip(SKIP_1) | instid1(TRANS32_DEP_1)
	v_rcp_f32_e32 v5, v1
	v_nop
	v_fma_f32 v7, -v1, v5, 1.0
	s_delay_alu instid0(VALU_DEP_1) | instskip(NEXT) | instid1(VALU_DEP_1)
	v_fmac_f32_e32 v5, v7, v5
	v_mul_f32_e32 v7, v8, v5
	s_delay_alu instid0(VALU_DEP_1) | instskip(NEXT) | instid1(VALU_DEP_1)
	v_fma_f32 v9, -v1, v7, v8
	v_fmac_f32_e32 v7, v9, v5
	s_delay_alu instid0(VALU_DEP_1) | instskip(NEXT) | instid1(VALU_DEP_1)
	v_fma_f32 v1, -v1, v7, v8
	v_div_fmas_f32 v1, v1, v5, v7
	v_mov_b32_e32 v7, 0
	s_delay_alu instid0(VALU_DEP_2) | instskip(NEXT) | instid1(VALU_DEP_1)
	v_div_fixup_f32 v5, v1, v4, v0
	v_sub_f32_e32 v1, v6, v5
.LBB0_182:
	s_or_b32 exec_lo, exec_lo, s2
                                        ; implicit-def: $vgpr0
                                        ; implicit-def: $vgpr8
.LBB0_183:
	s_and_not1_saveexec_b32 s1, s1
	s_cbranch_execz .LBB0_187
; %bb.184:
	v_mov_b64_e32 v[2:3], 0
	v_dual_mov_b32 v5, 0 :: v_dual_mov_b32 v1, 0
	s_mov_b32 s2, exec_lo
	v_cmpx_eq_u32_e32 0, v32
	s_cbranch_execz .LBB0_186
; %bb.185:
	v_mul_f32_e32 v2, 0xbfb8aa3b, v8
	s_mov_b32 s6, 0xaf31cb49
	v_cmp_nlt_f32_e32 vcc_lo, 0x42ce8ed0, v8
	s_delay_alu instid0(VALU_DEP_2) | instskip(SKIP_1) | instid1(VALU_DEP_2)
	v_rndne_f32_e32 v3, v2
	v_fma_f32 v4, 0xbfb8aa3b, v8, -v2
	v_dual_fmaak_f32 v1, s6, v0, 0x3106d68d :: v_dual_sub_f32 v2, v2, v3
	s_delay_alu instid0(VALU_DEP_2) | instskip(NEXT) | instid1(VALU_DEP_2)
	v_fmamk_f32 v4, v8, 0xb2a5705f, v4
	v_fmaak_f32 v1, v0, v1, 0xb2b806a8
	v_cvt_i32_f32_e32 v3, v3
	s_delay_alu instid0(VALU_DEP_3) | instskip(NEXT) | instid1(VALU_DEP_1)
	v_add_f32_e32 v2, v2, v4
	v_exp_f32_e32 v2, v2
	v_nop
	s_delay_alu instid0(TRANS32_DEP_1) | instskip(SKIP_2) | instid1(VALU_DEP_2)
	v_ldexp_f32 v4, v2, v3
	v_fmaak_f32 v1, v0, v1, 0x34693c08
	v_dual_mov_b32 v3, 0x3decf544 :: v_dual_mov_b32 v2, v8
	v_dual_cndmask_b32 v4, 0, v4 :: v_dual_fmaak_f32 v1, v0, v1, 0xb6057233
	v_cmp_ngt_f32_e32 vcc_lo, 0xc2b17218, v8
	s_delay_alu instid0(VALU_DEP_2) | instskip(NEXT) | instid1(VALU_DEP_1)
	v_fmaak_f32 v1, v0, v1, 0x3788416e
	v_fmaak_f32 v1, v0, v1, 0xb8f4d278
	s_delay_alu instid0(VALU_DEP_1) | instskip(NEXT) | instid1(VALU_DEP_1)
	v_fmaak_f32 v1, v0, v1, 0x3a3e0676
	v_fmaak_f32 v1, v0, v1, 0xbb78b3dc
	s_delay_alu instid0(VALU_DEP_1) | instskip(NEXT) | instid1(VALU_DEP_1)
	v_fmaak_f32 v1, v0, v1, 0x3c847be0
	v_fmaak_f32 v1, v0, v1, 0xbd58da91
	s_delay_alu instid0(VALU_DEP_1) | instskip(SKIP_1) | instid1(VALU_DEP_2)
	v_mul_f32_e32 v9, v0, v1
	v_cndmask_b32_e32 v1, 0x7f800000, v4, vcc_lo
	v_pk_add_f32 v[2:3], v[8:9], v[2:3]
	s_delay_alu instid0(VALU_DEP_1) | instskip(NEXT) | instid1(VALU_DEP_1)
	v_fmac_f32_e32 v1, v2, v3
	v_sub_f32_e32 v0, v1, v3
	s_delay_alu instid0(VALU_DEP_1) | instskip(SKIP_1) | instid1(VALU_DEP_2)
	v_div_scale_f32 v2, null, v0, v0, v3
	v_div_scale_f32 v7, vcc_lo, v3, v0, v3
	v_rcp_f32_e32 v4, v2
	v_nop
	s_delay_alu instid0(TRANS32_DEP_1) | instskip(NEXT) | instid1(VALU_DEP_1)
	v_fma_f32 v6, -v2, v4, 1.0
	v_fmac_f32_e32 v4, v6, v4
	s_delay_alu instid0(VALU_DEP_1) | instskip(NEXT) | instid1(VALU_DEP_1)
	v_mul_f32_e32 v6, v7, v4
	v_fma_f32 v8, -v2, v6, v7
	s_delay_alu instid0(VALU_DEP_1) | instskip(NEXT) | instid1(VALU_DEP_1)
	v_fmac_f32_e32 v6, v8, v4
	v_fma_f32 v2, -v2, v6, v7
	s_delay_alu instid0(VALU_DEP_1) | instskip(NEXT) | instid1(VALU_DEP_1)
	v_div_fmas_f32 v2, v2, v4, v6
	v_div_fixup_f32 v2, v2, v0, v3
	v_mov_b32_e32 v3, 0
.LBB0_186:
	s_or_b32 exec_lo, exec_lo, s2
	v_dual_mov_b32 v7, 0 :: v_dual_mov_b32 v12, 0
.LBB0_187:
	s_or_b32 exec_lo, exec_lo, s1
	s_delay_alu instid0(SALU_CYCLE_1)
	s_or_b32 exec_lo, exec_lo, s0
                                        ; implicit-def: $vgpr8
.LBB0_188:
	s_and_not1_saveexec_b32 s0, s5
	s_cbranch_execz .LBB0_468
.LBB0_189:
	s_mov_b32 s1, exec_lo
                                        ; implicit-def: $vgpr5
                                        ; implicit-def: $vgpr1
                                        ; implicit-def: $vgpr2_vgpr3
                                        ; implicit-def: $vgpr7
                                        ; implicit-def: $vgpr12
	v_cmpx_lt_i32_e32 0, v32
	s_xor_b32 s1, exec_lo, s1
	s_cbranch_execz .LBB0_197
; %bb.190:
	s_mov_b32 s2, exec_lo
                                        ; implicit-def: $vgpr5
                                        ; implicit-def: $vgpr1
                                        ; implicit-def: $vgpr2_vgpr3
                                        ; implicit-def: $vgpr7
                                        ; implicit-def: $vgpr12
	v_cmpx_lt_i32_e32 1, v32
	s_xor_b32 s2, exec_lo, s2
	s_cbranch_execz .LBB0_194
; %bb.191:
	v_mov_b64_e32 v[2:3], 0
	v_dual_mov_b32 v5, 0 :: v_dual_mov_b32 v1, 0
	v_dual_mov_b32 v7, 0 :: v_dual_mov_b32 v12, 0
	s_mov_b32 s5, exec_lo
	v_cmpx_eq_u32_e32 2, v32
	s_cbranch_execz .LBB0_193
; %bb.192:
	v_mov_b64_e32 v[0:1], 0xb25ebb25b00c3d32
	v_mov_b64_e32 v[2:3], 0x33a6583632ce461e
	s_mov_b32 s6, 0xb21f8577
	v_cmp_nlt_f32_e32 vcc_lo, 0x42ce8ed0, v8
	s_delay_alu instid0(VALU_DEP_2) | instskip(SKIP_1) | instid1(VALU_DEP_1)
	v_pk_fma_f32 v[0:1], v[8:9], v[0:1], v[2:3] op_sel_hi:[0,1,1]
	v_mov_b64_e32 v[2:3], 0x35d16908b5068207
	v_pk_fma_f32 v[0:1], v[8:9], v[0:1], v[2:3] op_sel_hi:[0,1,1]
	v_mov_b64_e32 v[2:3], 0xb784956836fe70ba
	s_delay_alu instid0(VALU_DEP_1) | instskip(SKIP_1) | instid1(VALU_DEP_1)
	v_pk_fma_f32 v[0:1], v[8:9], v[0:1], v[2:3] op_sel_hi:[0,1,1]
	v_mov_b64_e32 v[2:3], 0xb9ad3ff4b8c84bc4
	v_pk_fma_f32 v[0:1], v[8:9], v[0:1], v[2:3] op_sel_hi:[0,1,1]
	v_mov_b64_e32 v[2:3], 0x3c1f9fb73a86dd2d
	s_delay_alu instid0(VALU_DEP_1) | instskip(SKIP_1) | instid1(VALU_DEP_1)
	v_pk_fma_f32 v[0:1], v[8:9], v[0:1], v[2:3] op_sel_hi:[0,1,1]
	v_mov_b64_e32 v[2:3], 0xbdf4c255bc182fe0
	v_pk_fma_f32 v[0:1], v[8:9], v[0:1], v[2:3] op_sel_hi:[0,1,1]
	v_mov_b64_e32 v[2:3], 0x3f46dde53d774dcb
	s_delay_alu instid0(VALU_DEP_1) | instskip(SKIP_2) | instid1(VALU_DEP_1)
	v_pk_fma_f32 v[2:3], v[8:9], v[0:1], v[2:3] op_sel_hi:[0,1,1]
	v_fmaak_f32 v0, s6, v8, 0xb4a28ea1
	s_mov_b32 s6, 0xb3a3678d
	v_fmaak_f32 v0, v8, v0, 0xb62843db
	s_delay_alu instid0(VALU_DEP_1) | instskip(NEXT) | instid1(VALU_DEP_1)
	v_fmaak_f32 v0, v8, v0, 0xb6f5dcde
	v_fmaak_f32 v0, v8, v0, 0x39800a51
	s_delay_alu instid0(VALU_DEP_1) | instskip(NEXT) | instid1(VALU_DEP_1)
	v_fmaak_f32 v0, v8, v0, 0x3d4aa72f
	v_fmaak_f32 v0, v8, v0, 0xbf8334b6
	s_delay_alu instid0(VALU_DEP_1) | instskip(SKIP_1) | instid1(VALU_DEP_1)
	v_fmaak_f32 v12, v8, v0, 0x40d535a8
	v_fmaak_f32 v0, s6, v8, 0x35930a14
	;; [unrolled: 1-line block ×3, first 2 shown]
	s_delay_alu instid0(VALU_DEP_1) | instskip(NEXT) | instid1(VALU_DEP_1)
	v_fmaak_f32 v0, v8, v0, 0x38ab321b
	v_fmaak_f32 v0, v8, v0, 0xba11a0c3
	s_delay_alu instid0(VALU_DEP_1) | instskip(NEXT) | instid1(VALU_DEP_1)
	v_fmaak_f32 v0, v8, v0, 0x3b520d00
	v_fmaak_f32 v0, v8, v0, 0xbc783e0e
	;; [unrolled: 3-line block ×3, first 2 shown]
	s_delay_alu instid0(VALU_DEP_1) | instskip(SKIP_1) | instid1(VALU_DEP_1)
	v_mul_f32_e32 v9, v8, v0
	v_mul_f32_e32 v0, 0xbfb8aa3b, v8
	v_rndne_f32_e32 v1, v0
	s_delay_alu instid0(VALU_DEP_1) | instskip(SKIP_2) | instid1(VALU_DEP_2)
	v_sub_f32_e32 v4, v0, v1
	v_fma_f32 v0, 0xbfb8aa3b, v8, -v0
	v_cvt_i32_f32_e32 v1, v1
	v_fmamk_f32 v0, v8, 0xb2a5705f, v0
	s_delay_alu instid0(VALU_DEP_1) | instskip(NEXT) | instid1(VALU_DEP_1)
	v_add_f32_e32 v0, v4, v0
	v_exp_f32_e32 v0, v0
	v_nop
	s_delay_alu instid0(TRANS32_DEP_1) | instskip(NEXT) | instid1(VALU_DEP_1)
	v_ldexp_f32 v0, v0, v1
	v_cndmask_b32_e32 v0, 0, v0, vcc_lo
	v_cmp_ngt_f32_e32 vcc_lo, 0xc2b17218, v8
	s_delay_alu instid0(VALU_DEP_2) | instskip(SKIP_1) | instid1(VALU_DEP_1)
	v_cndmask_b32_e32 v1, 0x7f800000, v0, vcc_lo
	v_add_f32_e32 v0, 1.0, v12
	v_div_scale_f32 v4, null, v0, v0, v12
	s_delay_alu instid0(VALU_DEP_1) | instskip(SKIP_1) | instid1(TRANS32_DEP_1)
	v_rcp_f32_e32 v5, v4
	v_nop
	v_fma_f32 v6, -v4, v5, 1.0
	s_delay_alu instid0(VALU_DEP_1) | instskip(SKIP_1) | instid1(VALU_DEP_1)
	v_fmac_f32_e32 v5, v6, v5
	v_div_scale_f32 v6, vcc_lo, v12, v0, v12
	v_mul_f32_e32 v7, v6, v5
	s_delay_alu instid0(VALU_DEP_1) | instskip(NEXT) | instid1(VALU_DEP_1)
	v_fma_f32 v13, -v4, v7, v6
	v_fmac_f32_e32 v7, v13, v5
	s_delay_alu instid0(VALU_DEP_1) | instskip(SKIP_1) | instid1(VALU_DEP_2)
	v_fma_f32 v4, -v4, v7, v6
	v_mov_b32_e32 v6, v8
	v_div_fmas_f32 v4, v4, v5, v7
	v_mov_b32_e32 v7, 0x3e4ccccd
	s_delay_alu instid0(VALU_DEP_2) | instskip(NEXT) | instid1(VALU_DEP_2)
	v_div_fixup_f32 v4, v4, v0, v12
	v_pk_add_f32 v[6:7], v[8:9], v[6:7]
	s_delay_alu instid0(VALU_DEP_1) | instskip(NEXT) | instid1(VALU_DEP_1)
	v_fma_f32 v0, v6, v7, v1
	v_div_scale_f32 v5, null, 0x40400000, 0x40400000, v0
	s_delay_alu instid0(VALU_DEP_1) | instskip(SKIP_1) | instid1(TRANS32_DEP_1)
	v_rcp_f32_e32 v8, v5
	v_nop
	v_fma_f32 v9, -v5, v8, 1.0
	s_delay_alu instid0(VALU_DEP_1) | instskip(SKIP_1) | instid1(VALU_DEP_1)
	v_fmac_f32_e32 v8, v9, v8
	v_div_scale_f32 v9, vcc_lo, v0, 0x40400000, v0
	v_mul_f32_e32 v13, v9, v8
	s_delay_alu instid0(VALU_DEP_1) | instskip(NEXT) | instid1(VALU_DEP_1)
	v_fma_f32 v16, -v5, v13, v9
	v_fmac_f32_e32 v13, v16, v8
	s_delay_alu instid0(VALU_DEP_1) | instskip(NEXT) | instid1(VALU_DEP_1)
	v_fma_f32 v5, -v5, v13, v9
	v_div_fmas_f32 v5, v5, v8, v13
	v_pk_add_f32 v[8:9], v[2:3], 1.0 op_sel_hi:[1,0]
	s_delay_alu instid0(VALU_DEP_2) | instskip(NEXT) | instid1(VALU_DEP_2)
	v_div_fixup_f32 v0, v5, 0x40400000, v0
	v_div_scale_f32 v5, null, v9, v9, v3
	s_delay_alu instid0(VALU_DEP_2) | instskip(NEXT) | instid1(VALU_DEP_2)
	v_fmac_f32_e32 v1, v6, v0
	v_rcp_f32_e32 v13, v5
	v_dual_mov_b32 v6, v7 :: v_dual_mov_b32 v7, v0
	s_delay_alu instid0(TRANS32_DEP_1) | instskip(NEXT) | instid1(VALU_DEP_1)
	v_fma_f32 v16, -v5, v13, 1.0
	v_fmac_f32_e32 v13, v16, v13
	v_div_scale_f32 v16, vcc_lo, v3, v9, v3
	s_delay_alu instid0(VALU_DEP_1) | instskip(NEXT) | instid1(VALU_DEP_1)
	v_mul_f32_e32 v17, v16, v13
	v_fma_f32 v20, -v5, v17, v16
	s_delay_alu instid0(VALU_DEP_1) | instskip(NEXT) | instid1(VALU_DEP_1)
	v_fmac_f32_e32 v17, v20, v13
	v_fma_f32 v5, -v5, v17, v16
	s_delay_alu instid0(VALU_DEP_1) | instskip(NEXT) | instid1(VALU_DEP_1)
	v_div_fmas_f32 v5, v5, v13, v17
	v_div_fixup_f32 v9, v5, v9, v3
	v_div_scale_f32 v5, null, v8, v8, v2
	s_delay_alu instid0(VALU_DEP_1) | instskip(SKIP_1) | instid1(TRANS32_DEP_1)
	v_rcp_f32_e32 v13, v5
	v_nop
	v_fma_f32 v16, -v5, v13, 1.0
	s_delay_alu instid0(VALU_DEP_1) | instskip(SKIP_1) | instid1(VALU_DEP_1)
	v_fmac_f32_e32 v13, v16, v13
	v_div_scale_f32 v16, vcc_lo, v2, v8, v2
	v_mul_f32_e32 v17, v16, v13
	s_delay_alu instid0(VALU_DEP_1) | instskip(NEXT) | instid1(VALU_DEP_1)
	v_fma_f32 v20, -v5, v17, v16
	v_fmac_f32_e32 v17, v20, v13
	s_delay_alu instid0(VALU_DEP_1) | instskip(NEXT) | instid1(VALU_DEP_1)
	v_fma_f32 v5, -v5, v17, v16
	v_div_fmas_f32 v5, v5, v13, v17
	s_delay_alu instid0(VALU_DEP_1) | instskip(NEXT) | instid1(VALU_DEP_1)
	v_div_fixup_f32 v8, v5, v8, v2
	v_pk_add_f32 v[20:21], v[4:5], v[8:9] op_sel_hi:[0,1] neg_lo:[0,1] neg_hi:[0,1]
	v_pk_fma_f32 v[6:7], v[8:9], v[0:1], v[6:7] op_sel_hi:[0,1,1] neg_lo:[1,0,0] neg_hi:[1,0,0]
	s_delay_alu instid0(VALU_DEP_2) | instskip(NEXT) | instid1(VALU_DEP_2)
	v_mov_b32_e32 v5, v20
	v_pk_mul_f32 v[16:17], v[8:9], v[6:7]
	s_delay_alu instid0(VALU_DEP_2) | instskip(SKIP_1) | instid1(VALU_DEP_3)
	v_pk_mul_f32 v[98:99], v[20:21], v[4:5]
	v_dual_mov_b32 v5, v8 :: v_dual_mov_b32 v20, v7
	v_mov_b32_e32 v7, v17
	s_delay_alu instid0(VALU_DEP_2) | instskip(NEXT) | instid1(VALU_DEP_1)
	v_pk_add_f32 v[8:9], v[8:9], v[4:5] neg_lo:[0,1] neg_hi:[0,1]
	v_dual_mov_b32 v5, v9 :: v_dual_mov_b32 v9, v6
	s_delay_alu instid0(VALU_DEP_1) | instskip(NEXT) | instid1(VALU_DEP_1)
	v_pk_mul_f32 v[4:5], v[4:5], v[20:21]
	v_mov_b32_e32 v8, v4
	s_delay_alu instid0(VALU_DEP_1) | instskip(NEXT) | instid1(VALU_DEP_1)
	v_pk_add_f32 v[6:7], v[8:9], v[6:7] neg_lo:[0,1] neg_hi:[0,1]
	v_div_scale_f32 v0, null, v99, v99, v7
	s_delay_alu instid0(VALU_DEP_1) | instskip(SKIP_1) | instid1(TRANS32_DEP_1)
	v_rcp_f32_e32 v4, v0
	v_nop
	v_fma_f32 v8, -v0, v4, 1.0
	s_delay_alu instid0(VALU_DEP_1) | instskip(SKIP_1) | instid1(VALU_DEP_1)
	v_fmac_f32_e32 v4, v8, v4
	v_div_scale_f32 v8, vcc_lo, v7, v99, v7
	v_mul_f32_e32 v9, v8, v4
	s_delay_alu instid0(VALU_DEP_1) | instskip(NEXT) | instid1(VALU_DEP_1)
	v_fma_f32 v13, -v0, v9, v8
	v_fmac_f32_e32 v9, v13, v4
	s_delay_alu instid0(VALU_DEP_1) | instskip(NEXT) | instid1(VALU_DEP_1)
	v_fma_f32 v0, -v0, v9, v8
	v_div_fmas_f32 v0, v0, v4, v9
	s_delay_alu instid0(VALU_DEP_1) | instskip(SKIP_1) | instid1(VALU_DEP_1)
	v_div_fixup_f32 v7, v0, v99, v7
	v_div_scale_f32 v0, null, v5, v5, v6
	v_rcp_f32_e32 v4, v0
	v_nop
	s_delay_alu instid0(TRANS32_DEP_1) | instskip(NEXT) | instid1(VALU_DEP_1)
	v_fma_f32 v8, -v0, v4, 1.0
	v_fmac_f32_e32 v4, v8, v4
	v_div_scale_f32 v8, vcc_lo, v6, v5, v6
	s_delay_alu instid0(VALU_DEP_1) | instskip(NEXT) | instid1(VALU_DEP_1)
	v_mul_f32_e32 v9, v8, v4
	v_fma_f32 v13, -v0, v9, v8
	s_delay_alu instid0(VALU_DEP_1) | instskip(NEXT) | instid1(VALU_DEP_1)
	v_fmac_f32_e32 v9, v13, v4
	v_fma_f32 v0, -v0, v9, v8
	s_delay_alu instid0(VALU_DEP_1) | instskip(NEXT) | instid1(VALU_DEP_1)
	v_div_fmas_f32 v0, v0, v4, v9
	v_div_fixup_f32 v5, v0, v5, v6
	s_delay_alu instid0(VALU_DEP_1) | instskip(NEXT) | instid1(VALU_DEP_1)
	v_sub_f32_e32 v0, v1, v5
	v_sub_f32_e32 v1, v0, v7
.LBB0_193:
	s_or_b32 exec_lo, exec_lo, s5
                                        ; implicit-def: $vgpr8
.LBB0_194:
	s_and_not1_saveexec_b32 s2, s2
	s_cbranch_execz .LBB0_196
; %bb.195:
	v_mov_b64_e32 v[0:1], 0xb2d484eab121a6de
	v_mov_b64_e32 v[2:3], 0x347e45d032d609dd
	;; [unrolled: 1-line block ×3, first 2 shown]
	v_mul_f32_e32 v7, 0xbfb8aa3b, v8
	s_mov_b32 s5, 0xb3b398d8
	v_cmp_nlt_f32_e32 vcc_lo, 0x42ce8ed0, v8
	s_delay_alu instid0(VALU_DEP_2) | instskip(SKIP_2) | instid1(VALU_DEP_3)
	v_fma_f32 v12, 0xbfb8aa3b, v8, -v7
	v_pk_fma_f32 v[0:1], v[8:9], v[0:1], v[2:3] op_sel_hi:[0,1,1]
	v_mov_b64_e32 v[2:3], 0xb7ad52a3b6243b79
	v_fmamk_f32 v12, v8, 0xb2a5705f, v12
	s_delay_alu instid0(VALU_DEP_3) | instskip(SKIP_2) | instid1(VALU_DEP_2)
	v_pk_fma_f32 v[0:1], v[8:9], v[0:1], v[4:5] op_sel_hi:[0,1,1]
	v_rndne_f32_e32 v9, v7
	v_mov_b64_e32 v[4:5], 0xb90d1b2f3846f2b8
	v_dual_fmaak_f32 v6, s5, v8, 0x35a2b3c5 :: v_dual_sub_f32 v7, v7, v9
	s_delay_alu instid0(VALU_DEP_4) | instskip(SKIP_1) | instid1(VALU_DEP_3)
	v_pk_fma_f32 v[0:1], v[8:9], v[0:1], v[2:3] op_sel_hi:[0,1,1]
	v_mov_b64_e32 v[2:3], 0xb876b098ba0bc56c
	v_dual_fmaak_f32 v6, v8, v6, 0xb7420cb6 :: v_dual_add_f32 v7, v7, v12
	s_delay_alu instid0(VALU_DEP_3) | instskip(SKIP_2) | instid1(VALU_DEP_4)
	v_pk_fma_f32 v[0:1], v[8:9], v[0:1], v[4:5] op_sel_hi:[0,1,1]
	v_mov_b64_e32 v[4:5], 0x3d5a35523b91b45c
	v_mov_b32_e32 v12, 0
	v_exp_f32_e32 v7, v7
	s_delay_alu instid0(VALU_DEP_3) | instskip(SKIP_1) | instid1(VALU_DEP_2)
	v_pk_fma_f32 v[0:1], v[8:9], v[0:1], v[2:3] op_sel_hi:[0,1,1]
	v_mov_b64_e32 v[2:3], 0xbf233b4ebcedeba3
	v_pk_fma_f32 v[0:1], v[8:9], v[0:1], v[4:5] op_sel_hi:[0,1,1]
	v_cvt_i32_f32_e32 v9, v9
	v_mov_b64_e32 v[4:5], 0x4037a2b73e05d48b
	s_delay_alu instid0(TRANS32_DEP_1) | instid1(VALU_DEP_2)
	v_ldexp_f32 v7, v7, v9
	v_fmaak_f32 v6, v8, v6, 0x38c20728
	v_pk_fma_f32 v[0:1], v[8:9], v[0:1], v[2:3] op_sel_hi:[0,1,1]
	s_delay_alu instid0(VALU_DEP_2) | instskip(NEXT) | instid1(VALU_DEP_2)
	v_dual_cndmask_b32 v7, 0, v7 :: v_dual_fmaak_f32 v6, v8, v6, 0xba280863
	v_pk_fma_f32 v[2:3], v[8:9], v[0:1], v[4:5] op_sel_hi:[0,1,1]
	v_mov_b64_e32 v[0:1], 0x3eaaaaab3f800000
	v_cmp_ngt_f32_e32 vcc_lo, 0xc2b17218, v8
	s_delay_alu instid0(VALU_DEP_4) | instskip(NEXT) | instid1(VALU_DEP_4)
	v_fmaak_f32 v6, v8, v6, 0x3b783dec
	v_mov_b32_e32 v4, v3
	s_delay_alu instid0(VALU_DEP_2) | instskip(NEXT) | instid1(VALU_DEP_1)
	v_fmaak_f32 v6, v8, v6, 0xbc97b425
	v_fmaak_f32 v6, v8, v6, 0x3d924925
	s_delay_alu instid0(VALU_DEP_1) | instskip(NEXT) | instid1(VALU_DEP_1)
	v_fmaak_f32 v6, v8, v6, 0xbe4ccccd
	v_mul_f32_e32 v5, v8, v6
	s_delay_alu instid0(VALU_DEP_1) | instskip(SKIP_2) | instid1(VALU_DEP_1)
	v_pk_add_f32 v[0:1], v[4:5], v[0:1]
	v_add_f32_e32 v6, v8, v8
	v_cndmask_b32_e32 v8, 0x7f800000, v7, vcc_lo
	v_fmac_f32_e32 v8, v6, v1
	s_delay_alu instid0(VALU_DEP_1) | instskip(NEXT) | instid1(VALU_DEP_1)
	v_sub_f32_e32 v4, v1, v8
	v_dual_fma_f32 v1, v2, v4, v1 :: v_dual_sub_f32 v4, v3, v2
	s_delay_alu instid0(VALU_DEP_1) | instskip(NEXT) | instid1(VALU_DEP_1)
	v_mul_f32_e32 v0, v0, v1
	v_div_scale_f32 v1, null, v4, v4, v0
	v_div_scale_f32 v7, vcc_lo, v0, v4, v0
	s_delay_alu instid0(VALU_DEP_2) | instskip(SKIP_1) | instid1(TRANS32_DEP_1)
	v_rcp_f32_e32 v5, v1
	v_nop
	v_fma_f32 v6, -v1, v5, 1.0
	s_delay_alu instid0(VALU_DEP_1) | instskip(NEXT) | instid1(VALU_DEP_1)
	v_fmac_f32_e32 v5, v6, v5
	v_mul_f32_e32 v6, v7, v5
	s_delay_alu instid0(VALU_DEP_1) | instskip(NEXT) | instid1(VALU_DEP_1)
	v_fma_f32 v9, -v1, v6, v7
	v_fmac_f32_e32 v6, v9, v5
	s_delay_alu instid0(VALU_DEP_1) | instskip(NEXT) | instid1(VALU_DEP_1)
	v_dual_fma_f32 v1, -v1, v6, v7 :: v_dual_mov_b32 v7, 0
	v_div_fmas_f32 v1, v1, v5, v6
	s_delay_alu instid0(VALU_DEP_1) | instskip(NEXT) | instid1(VALU_DEP_1)
	v_div_fixup_f32 v5, v1, v4, v0
	v_sub_f32_e32 v1, v8, v5
.LBB0_196:
	s_or_b32 exec_lo, exec_lo, s2
                                        ; implicit-def: $vgpr8
.LBB0_197:
	s_and_not1_saveexec_b32 s1, s1
	s_cbranch_execz .LBB0_201
; %bb.198:
	v_mov_b64_e32 v[2:3], 0
	v_dual_mov_b32 v5, 0 :: v_dual_mov_b32 v1, 0
	s_mov_b32 s2, exec_lo
	v_cmpx_eq_u32_e32 0, v32
	s_cbranch_execz .LBB0_200
; %bb.199:
	v_mul_f32_e32 v1, 0xbfb8aa3b, v8
	s_mov_b32 s5, 0xb3b398d8
	v_cmp_nlt_f32_e32 vcc_lo, 0x42ce8ed0, v8
	s_delay_alu instid0(VALU_DEP_2) | instskip(SKIP_1) | instid1(VALU_DEP_2)
	v_rndne_f32_e32 v2, v1
	v_fma_f32 v3, 0xbfb8aa3b, v8, -v1
	v_dual_fmaak_f32 v0, s5, v8, 0x35a2b3c5 :: v_dual_sub_f32 v1, v1, v2
	s_delay_alu instid0(VALU_DEP_2) | instskip(NEXT) | instid1(VALU_DEP_2)
	v_fmamk_f32 v3, v8, 0xb2a5705f, v3
	v_fmaak_f32 v0, v8, v0, 0xb7420cb6
	v_cvt_i32_f32_e32 v2, v2
	s_delay_alu instid0(VALU_DEP_3) | instskip(SKIP_1) | instid1(VALU_DEP_2)
	v_add_f32_e32 v1, v1, v3
	v_mov_b32_e32 v3, 0x3eaaaaab
	v_exp_f32_e32 v1, v1
	v_nop
	s_delay_alu instid0(TRANS32_DEP_1) | instskip(SKIP_1) | instid1(VALU_DEP_2)
	v_ldexp_f32 v1, v1, v2
	v_fmaak_f32 v0, v8, v0, 0x38c20728
	v_dual_mov_b32 v2, v8 :: v_dual_cndmask_b32 v1, 0, v1
	v_cmp_ngt_f32_e32 vcc_lo, 0xc2b17218, v8
	s_delay_alu instid0(VALU_DEP_2) | instskip(NEXT) | instid1(VALU_DEP_4)
	v_cndmask_b32_e32 v1, 0x7f800000, v1, vcc_lo
	v_fmaak_f32 v0, v8, v0, 0xba280863
	s_delay_alu instid0(VALU_DEP_1) | instskip(NEXT) | instid1(VALU_DEP_1)
	v_fmaak_f32 v0, v8, v0, 0x3b783dec
	v_fmaak_f32 v0, v8, v0, 0xbc97b425
	s_delay_alu instid0(VALU_DEP_1) | instskip(NEXT) | instid1(VALU_DEP_1)
	v_fmaak_f32 v0, v8, v0, 0x3d924925
	v_fmaak_f32 v0, v8, v0, 0xbe4ccccd
	s_delay_alu instid0(VALU_DEP_1) | instskip(NEXT) | instid1(VALU_DEP_1)
	v_mul_f32_e32 v9, v8, v0
	v_pk_add_f32 v[2:3], v[8:9], v[2:3]
	s_delay_alu instid0(VALU_DEP_1) | instskip(NEXT) | instid1(VALU_DEP_1)
	v_fmac_f32_e32 v1, v2, v3
	v_sub_f32_e32 v0, v1, v3
	s_delay_alu instid0(VALU_DEP_1) | instskip(SKIP_1) | instid1(VALU_DEP_2)
	v_div_scale_f32 v2, null, v0, v0, v3
	v_div_scale_f32 v7, vcc_lo, v3, v0, v3
	v_rcp_f32_e32 v4, v2
	v_nop
	s_delay_alu instid0(TRANS32_DEP_1) | instskip(NEXT) | instid1(VALU_DEP_1)
	v_fma_f32 v6, -v2, v4, 1.0
	v_fmac_f32_e32 v4, v6, v4
	s_delay_alu instid0(VALU_DEP_1) | instskip(NEXT) | instid1(VALU_DEP_1)
	v_mul_f32_e32 v6, v7, v4
	v_fma_f32 v8, -v2, v6, v7
	s_delay_alu instid0(VALU_DEP_1) | instskip(NEXT) | instid1(VALU_DEP_1)
	v_fmac_f32_e32 v6, v8, v4
	v_fma_f32 v2, -v2, v6, v7
	s_delay_alu instid0(VALU_DEP_1) | instskip(NEXT) | instid1(VALU_DEP_1)
	v_div_fmas_f32 v2, v2, v4, v6
	v_div_fixup_f32 v2, v2, v0, v3
	v_mov_b32_e32 v3, 0
.LBB0_200:
	s_or_b32 exec_lo, exec_lo, s2
	v_dual_mov_b32 v7, 0 :: v_dual_mov_b32 v12, 0
.LBB0_201:
	s_or_b32 exec_lo, exec_lo, s1
	s_delay_alu instid0(SALU_CYCLE_1)
	s_or_b32 exec_lo, exec_lo, s0
                                        ; implicit-def: $vgpr8
.LBB0_202:
	s_and_not1_saveexec_b32 s1, s4
	s_cbranch_execz .LBB0_216
.LBB0_203:
	s_mov_b32 s0, exec_lo
                                        ; implicit-def: $vgpr5
                                        ; implicit-def: $vgpr1
                                        ; implicit-def: $vgpr2_vgpr3
                                        ; implicit-def: $vgpr7
                                        ; implicit-def: $vgpr12
	v_cmpx_lt_i32_e32 0, v32
	s_xor_b32 s0, exec_lo, s0
	s_cbranch_execz .LBB0_211
; %bb.204:
	s_mov_b32 s2, exec_lo
                                        ; implicit-def: $vgpr5
                                        ; implicit-def: $vgpr1
                                        ; implicit-def: $vgpr2_vgpr3
                                        ; implicit-def: $vgpr7
                                        ; implicit-def: $vgpr12
	v_cmpx_lt_i32_e32 1, v32
	s_xor_b32 s2, exec_lo, s2
	s_cbranch_execz .LBB0_208
; %bb.205:
	v_mov_b64_e32 v[2:3], 0
	v_dual_mov_b32 v5, 0 :: v_dual_mov_b32 v1, 0
	v_dual_mov_b32 v7, 0 :: v_dual_mov_b32 v12, 0
	s_mov_b32 s4, exec_lo
	v_cmpx_eq_u32_e32 2, v32
	s_cbranch_execz .LBB0_207
; %bb.206:
	v_mov_b64_e32 v[4:5], 0xbe18a7b1bd675fa3
	v_mov_b64_e32 v[6:7], 0x3eb8b5be3eef926a
	;; [unrolled: 1-line block ×4, first 2 shown]
	s_mov_b32 s5, 0xbf8334b6
	s_mov_b32 s6, 0xbe02d5bc
	s_delay_alu instid0(VALU_DEP_3) | instskip(SKIP_1) | instid1(VALU_DEP_3)
	v_pk_fma_f32 v[4:5], v[8:9], v[4:5], v[6:7] op_sel_hi:[0,1,1]
	v_fmaak_f32 v12, s5, v8, 0x40d535a8
	v_pk_fma_f32 v[2:3], v[8:9], v[0:1], v[2:3] op_sel_hi:[0,1,1]
	v_fmaak_f32 v7, s6, v8, 0x3e2f6fb0
	s_delay_alu instid0(VALU_DEP_4)
	v_mov_b32_e32 v1, v4
.LBB0_207:
	s_or_b32 exec_lo, exec_lo, s4
                                        ; implicit-def: $vgpr8
.LBB0_208:
	s_and_not1_saveexec_b32 s2, s2
	s_cbranch_execz .LBB0_210
; %bb.209:
	v_mov_b64_e32 v[0:1], 0xbe57acb2bdfb5148
	v_mov_b64_e32 v[2:3], 0x3eb21a083f26f2fc
	;; [unrolled: 1-line block ×4, first 2 shown]
	s_delay_alu instid0(VALU_DEP_3) | instskip(SKIP_1) | instid1(VALU_DEP_3)
	v_pk_fma_f32 v[4:5], v[8:9], v[0:1], v[2:3] op_sel_hi:[0,1,1]
	v_mov_b32_e32 v7, 0
	v_pk_fma_f32 v[2:3], v[8:9], v[12:13], v[16:17] op_sel_hi:[0,1,1]
	s_delay_alu instid0(VALU_DEP_3)
	v_dual_mov_b32 v12, 0 :: v_dual_mov_b32 v1, v4
.LBB0_210:
	s_or_b32 exec_lo, exec_lo, s2
                                        ; implicit-def: $vgpr8
.LBB0_211:
	s_and_not1_saveexec_b32 s2, s0
	s_cbranch_execz .LBB0_215
; %bb.212:
	v_mov_b64_e32 v[2:3], 0
	v_dual_mov_b32 v5, 0 :: v_dual_mov_b32 v1, 0
	s_mov_b32 s4, exec_lo
	v_cmpx_eq_u32_e32 0, v32
	s_cbranch_execz .LBB0_214
; %bb.213:
	v_div_scale_f32 v0, null, 0xc0a00000, 0xc0a00000, v8
	v_div_scale_f32 v1, null, 0xc0400000, 0xc0400000, v8
	v_div_scale_f32 v7, vcc_lo, v8, 0xc0a00000, v8
	s_delay_alu instid0(VALU_DEP_3) | instskip(NEXT) | instid1(VALU_DEP_2)
	v_rcp_f32_e32 v2, v0
	v_rcp_f32_e32 v3, v1
	s_delay_alu instid0(TRANS32_DEP_2) | instskip(NEXT) | instid1(TRANS32_DEP_1)
	v_fma_f32 v4, -v0, v2, 1.0
	v_fma_f32 v6, -v1, v3, 1.0
	s_delay_alu instid0(VALU_DEP_1) | instskip(SKIP_1) | instid1(VALU_DEP_1)
	v_dual_fmac_f32 v2, v4, v2 :: v_dual_fmac_f32 v3, v6, v3
	v_div_scale_f32 v4, s0, v8, 0xc0400000, v8
	v_dual_mul_f32 v6, v7, v2 :: v_dual_mul_f32 v9, v4, v3
	s_delay_alu instid0(VALU_DEP_1) | instskip(NEXT) | instid1(VALU_DEP_1)
	v_dual_fma_f32 v12, -v0, v6, v7 :: v_dual_fma_f32 v13, -v1, v9, v4
	v_dual_fmac_f32 v6, v12, v2 :: v_dual_fmac_f32 v9, v13, v3
	s_delay_alu instid0(VALU_DEP_1) | instskip(NEXT) | instid1(VALU_DEP_1)
	v_dual_fma_f32 v0, -v0, v6, v7 :: v_dual_fma_f32 v1, -v1, v9, v4
	v_div_fmas_f32 v0, v0, v2, v6
	s_mov_b32 vcc_lo, s0
	s_delay_alu instid0(VALU_DEP_2) | instskip(SKIP_1) | instid1(VALU_DEP_3)
	v_div_fmas_f32 v1, v1, v3, v9
	v_mov_b32_e32 v3, 0
	v_div_fixup_f32 v0, v0, 0xc0a00000, v8
	s_delay_alu instid0(VALU_DEP_3) | instskip(NEXT) | instid1(VALU_DEP_1)
	v_div_fixup_f32 v1, v1, 0xc0400000, v8
	v_dual_add_f32 v2, 0.5, v0 :: v_dual_add_f32 v1, 1.0, v1
.LBB0_214:
	s_or_b32 exec_lo, exec_lo, s4
	v_dual_mov_b32 v7, 0 :: v_dual_mov_b32 v12, 0
.LBB0_215:
	s_or_b32 exec_lo, exec_lo, s2
.LBB0_216:
	s_delay_alu instid0(SALU_CYCLE_1) | instskip(NEXT) | instid1(SALU_CYCLE_1)
	s_or_b32 exec_lo, exec_lo, s1
	s_mov_b32 s0, exec_lo
	s_clause 0x1
	scratch_store_b32 off, v2, s32 offset:112
	scratch_store_b32 off, v1, s32 offset:144
	s_wait_xcnt 0x0
	v_cmpx_lt_i32_e32 1, v96
	s_cbranch_execz .LBB0_218
; %bb.217:
	s_clause 0x1
	scratch_store_b32 off, v3, s32 offset:116
	scratch_store_b32 off, v5, s32 offset:148
.LBB0_218:
	s_wait_xcnt 0x0
	s_or_b32 exec_lo, exec_lo, s0
	s_delay_alu instid0(SALU_CYCLE_1)
	s_mov_b32 s0, exec_lo
	v_cmpx_lt_i32_e32 3, v96
	s_cbranch_execz .LBB0_220
; %bb.219:
	s_clause 0x1
	scratch_store_b32 off, v12, s32 offset:120
	scratch_store_b32 off, v7, s32 offset:152
.LBB0_220:
	s_wait_xcnt 0x0
	s_or_b32 exec_lo, exec_lo, s0
.LBB0_221:
	s_delay_alu instid0(SALU_CYCLE_1)
	s_or_b32 exec_lo, exec_lo, s3
	v_mov_b32_e32 v6, 0
	s_mov_b32 s73, exec_lo
	v_cmpx_lt_i32_e32 -2, v96
	s_cbranch_execz .LBB0_465
; %bb.222:
	v_dual_mul_f32 v0, v84, v83 :: v_dual_mul_f32 v2, v69, -v68
	v_div_scale_f32 v1, null, v39, v39, 0.5
	v_div_scale_f32 v5, null, v51, v51, 0.5
	s_delay_alu instid0(VALU_DEP_3) | instskip(NEXT) | instid1(VALU_DEP_3)
	v_div_scale_f32 v3, null, v51, v51, v0
	v_rcp_f32_e32 v4, v1
	v_div_scale_f32 v6, null, v39, v39, v2
	s_delay_alu instid0(VALU_DEP_2) | instskip(SKIP_2) | instid1(VALU_DEP_2)
	v_rcp_f32_e32 v7, v3
	v_rcp_f32_e32 v8, v5
	v_div_scale_f32 v16, vcc_lo, v0, v51, v0
	v_rcp_f32_e32 v9, v6
	v_fma_f32 v12, -v1, v4, 1.0
	s_add_co_i32 s75, s32, 0xcc
	s_delay_alu instid0(TRANS32_DEP_3) | instskip(NEXT) | instid1(TRANS32_DEP_2)
	v_fma_f32 v13, -v3, v7, 1.0
	v_fma_f32 v17, -v5, v8, 1.0
	v_cmp_lt_u32_e64 s8, 1, v27
	v_fmac_f32_e32 v4, v12, v4
	v_fma_f32 v12, -v6, v9, 1.0
	v_fmac_f32_e32 v7, v13, v7
	v_div_scale_f32 v13, s0, 0.5, v39, 0.5
	s_delay_alu instid0(VALU_DEP_3) | instskip(SKIP_1) | instid1(VALU_DEP_3)
	v_dual_fmac_f32 v8, v17, v8 :: v_dual_fmac_f32 v9, v12, v9
	v_div_scale_f32 v17, s1, 0.5, v51, 0.5
	v_dual_mul_f32 v20, v16, v7 :: v_dual_mul_f32 v21, v13, v4
	v_div_scale_f32 v12, s2, v2, v39, v2
	s_delay_alu instid0(VALU_DEP_3) | instskip(NEXT) | instid1(VALU_DEP_3)
	v_mul_f32_e32 v68, v17, v8
	v_dual_fma_f32 v83, -v3, v20, v16 :: v_dual_fma_f32 v84, -v1, v21, v13
	s_delay_alu instid0(VALU_DEP_3) | instskip(SKIP_1) | instid1(VALU_DEP_3)
	v_mul_f32_e32 v69, v12, v9
	v_cmp_lt_i32_e64 s14, -1, v28
	v_dual_fma_f32 v96, -v5, v68, v17 :: v_dual_fmac_f32 v20, v83, v7
	s_delay_alu instid0(VALU_DEP_3) | instskip(SKIP_1) | instid1(VALU_DEP_3)
	v_dual_fmac_f32 v21, v84, v4 :: v_dual_fma_f32 v97, -v6, v69, v12
	v_cmp_lt_i32_e64 s15, -1, v25
	v_fmac_f32_e32 v68, v96, v8
	s_delay_alu instid0(VALU_DEP_3) | instskip(NEXT) | instid1(VALU_DEP_4)
	v_dual_fma_f32 v3, -v3, v20, v16 :: v_dual_fma_f32 v1, -v1, v21, v13
	v_fmac_f32_e32 v69, v97, v9
	v_cmp_lt_i32_e64 s16, 1, v25
	s_delay_alu instid0(VALU_DEP_4) | instskip(NEXT) | instid1(VALU_DEP_4)
	v_fma_f32 v5, -v5, v68, v17
	v_div_fmas_f32 v3, v3, v7, v20
	s_mov_b32 vcc_lo, s0
	v_fma_f32 v6, -v6, v69, v12
	v_div_fmas_f32 v1, v1, v4, v21
	s_mov_b32 vcc_lo, s1
	v_div_fixup_f32 v0, v3, v51, v0
	v_div_fmas_f32 v4, v5, v8, v68
	s_mov_b32 vcc_lo, s2
	v_dual_sub_f32 v7, v71, v70 :: v_dual_sub_f32 v8, v80, v64
	v_div_fmas_f32 v3, v6, v9, v69
	v_cmp_gt_f32_e32 vcc_lo, 0xf800000, v85
	s_delay_alu instid0(VALU_DEP_3) | instskip(SKIP_1) | instid1(VALU_DEP_4)
	v_dual_mov_b32 v6, 0 :: v_dual_mul_f32 v5, v7, v0
	v_add_nc_u32_e32 v12, v27, v52
	v_div_fixup_f32 v2, v3, v39, v2
	v_mul_f32_e32 v3, 0x4f800000, v85
	v_add_nc_u32_e32 v9, v24, v33
	v_mul_f32_e32 v5, v7, v5
	s_delay_alu instid0(VALU_DEP_4) | instskip(NEXT) | instid1(VALU_DEP_4)
	v_dual_sub_f32 v17, v49, v65 :: v_dual_mul_f32 v13, v8, v2
	v_dual_cndmask_b32 v3, v85, v3 :: v_dual_sub_f32 v64, v87, v80
	v_sub_f32_e32 v16, v87, v71
	v_cmp_lt_i32_e64 s4, 0, v12
	s_delay_alu instid0(VALU_DEP_4) | instskip(NEXT) | instid1(VALU_DEP_4)
	v_dual_fma_f32 v5, v8, v13, -v5 :: v_dual_sub_f32 v13, v86, v80
	v_sqrt_f32_e32 v21, v3
	v_sub_f32_e32 v68, v86, v71
	v_cmp_lt_i32_e64 s0, -1, v27
	s_delay_alu instid0(VALU_DEP_3)
	v_mul_f32_e32 v20, 0x3fb8aa3b, v5
	v_cmp_ngt_f32_e64 s3, 0xc2ce8ed0, v5
	v_cmp_lt_i32_e64 s5, 1, v9
	v_cmp_lt_u32_e64 s18, 1, v28
	v_add_nc_u32_e32 v71, -1, v21
	v_fma_f32 v69, 0x3fb8aa3b, v5, -v20
	v_rndne_f32_e32 v70, v20
	v_add_nc_u32_e32 v65, 1, v21
	v_cmp_lt_i32_e64 s24, -1, v29
	v_fma_f32 v83, -v71, v21, v3
	s_delay_alu instid0(VALU_DEP_4) | instskip(NEXT) | instid1(VALU_DEP_4)
	v_dual_fmac_f32 v69, 0x32a5705f, v5 :: v_dual_sub_f32 v80, v20, v70
	v_dual_sub_f32 v20, v50, v55 :: v_dual_fma_f32 v84, -v65, v21, v3
	s_delay_alu instid0(VALU_DEP_3) | instskip(NEXT) | instid1(VALU_DEP_3)
	v_cmp_ge_f32_e64 s1, 0, v83
	v_dual_mul_f32 v55, v17, v0 :: v_dual_add_f32 v69, v80, v69
	v_cvt_i32_f32_e32 v70, v70
	v_cmp_eq_f32_e64 s19, 1.0, v17
	s_delay_alu instid0(VALU_DEP_4)
	v_dual_cndmask_b32 v21, v21, v71, s1 :: v_dual_mul_f32 v71, v20, v2
	v_cmp_lt_f32_e64 s2, 0, v84
	v_exp_f32_e32 v69, v69
	v_mul_f32_e32 v55, v17, v55
	v_cmp_lt_i32_e64 s1, -1, v24
	v_cmp_lt_i32_e64 s25, -1, v26
	v_cndmask_b32_e64 v65, v21, v65, s2
	v_dual_sub_f32 v21, v37, v53 :: v_dual_sub_f32 v53, v36, v54
	v_fma_f32 v71, v20, v71, -v55
	v_ldexp_f32 v55, v69, v70
	s_delay_alu instid0(VALU_DEP_4) | instskip(SKIP_3) | instid1(VALU_DEP_4)
	v_mul_f32_e32 v69, 0x37800000, v65
	v_cmp_lt_i32_e64 s2, 1, v24
	v_mul_f32_e32 v0, v53, v0
	v_mul_f32_e32 v70, 0x3fb8aa3b, v71
	v_dual_cndmask_b32 v55, 0, v55, s3 :: v_dual_cndmask_b32 v54, v65, v69, vcc_lo
	v_cmp_nlt_f32_e32 vcc_lo, 0x42b17218, v5
	s_delay_alu instid0(VALU_DEP_4) | instskip(NEXT) | instid1(VALU_DEP_4)
	v_mul_f32_e32 v0, v53, v0
	v_rndne_f32_e32 v69, v70
	v_mul_f32_e32 v2, v21, v2
	v_fma_f32 v65, 0x3fb8aa3b, v71, -v70
	v_cndmask_b32_e32 v5, 0x7f800000, v55, vcc_lo
	v_cmp_class_f32_e64 vcc_lo, v3, 0x260
	s_delay_alu instid0(VALU_DEP_4)
	v_dual_sub_f32 v55, v70, v69 :: v_dual_fma_f32 v0, v21, v2, -v0
	v_cvt_i32_f32_e32 v2, v69
	v_cmp_ngt_f32_e64 s6, 0xc2ce8ed0, v71
	v_dual_cndmask_b32 v3, v54, v3 :: v_dual_mul_f32 v54, v51, v64
	v_mul_f32_e32 v5, 0x40490fdb, v5
	v_cmp_nlt_f32_e64 s7, 0x42b17218, v71
	v_cmp_ngt_f32_e64 s9, 0xc2ce8ed0, v0
	v_cmp_nlt_f32_e64 s10, 0x42b17218, v0
	v_cmp_lt_i32_e64 s3, 0, v9
	v_div_scale_f32 v64, null, v3, v3, v5
	v_mul_f32_e32 v80, 0x3fb8aa3b, v0
	v_cmp_lt_i32_e64 s26, 1, v26
	s_and_b32 s76, s3, s4
	v_rcp_f32_e32 v70, v64
	v_cmp_lt_u32_e64 s28, 1, v29
	v_cmp_eq_f32_e64 s29, 1.0, v53
	v_cmp_lt_u32_e64 s40, 4, v24
	v_cmp_lt_u32_e64 s42, 4, v27
	;; [unrolled: 1-line block ×4, first 2 shown]
	v_fma_f32 v69, -v64, v70, 1.0
	v_fmac_f32_e32 v65, 0x32a5705f, v71
	v_rndne_f32_e32 v71, v80
	v_cmp_lt_u32_e64 s56, 4, v26
	v_cmp_lt_u32_e64 s58, 4, v29
	s_delay_alu instid0(VALU_DEP_4) | instskip(SKIP_3) | instid1(VALU_DEP_3)
	v_dual_fmac_f32 v70, v69, v70 :: v_dual_add_f32 v65, v55, v65
	v_fma_f32 v69, 0x3fb8aa3b, v0, -v80
	v_dual_fmac_f32 v54, v39, v13 :: v_dual_sub_f32 v80, v80, v71
	s_mov_b32 s74, 0
	v_exp_f32_e32 v65, v65
	s_delay_alu instid0(VALU_DEP_2) | instskip(SKIP_4) | instid1(TRANS32_DEP_1)
	v_fmac_f32_e32 v69, 0x32a5705f, v0
	s_mov_b32 s89, 0x3e76c4e1
	s_mov_b32 s90, 0
	v_dual_add_nc_u32 v114, 1, v24 :: v_dual_add_nc_u32 v119, 1, v29
	v_add_nc_u32_e32 v116, 1, v25
	v_ldexp_f32 v2, v65, v2
	v_div_scale_f32 v65, vcc_lo, v5, v3, v5
	v_dual_mul_f32 v55, v51, v16 :: v_dual_add_nc_u32 v118, 1, v26
	s_delay_alu instid0(VALU_DEP_3) | instskip(NEXT) | instid1(VALU_DEP_3)
	v_cndmask_b32_e64 v2, 0, v2, s6
	v_mul_f32_e32 v83, v65, v70
	v_cmp_lt_i32_e64 s6, 1, v12
	s_delay_alu instid0(VALU_DEP_4) | instskip(NEXT) | instid1(VALU_DEP_4)
	v_dual_fmac_f32 v55, v39, v68 :: v_dual_add_f32 v68, v80, v69
	v_cndmask_b32_e64 v2, 0x7f800000, v2, s7
	s_delay_alu instid0(VALU_DEP_4)
	v_fma_f32 v84, -v64, v83, v65
	v_cmp_eq_f32_e64 s7, 1.0, v8
	v_add_nc_u32_e32 v85, -1, v28
	v_exp_f32_e32 v69, v68
	v_mul_f32_e32 v2, 0x40490fdb, v2
	v_dual_fmac_f32 v83, v84, v70 :: v_dual_add_nc_u32 v115, 1, v27
	s_delay_alu instid0(VALU_DEP_3) | instskip(NEXT) | instid1(VALU_DEP_3)
	v_dual_add_nc_u32 v117, 1, v28 :: v_dual_bitop2_b32 v99, -4, v85 bitop3:0x40
	v_div_scale_f32 v84, null, v3, v3, v2
	s_delay_alu instid0(VALU_DEP_3) | instskip(SKIP_1) | instid1(VALU_DEP_4)
	v_fma_f32 v64, -v64, v83, v65
	v_div_fixup_f32 v65, v4, v51, 0.5
	v_or_b32_e32 v102, 2, v99
	s_delay_alu instid0(VALU_DEP_4)
	v_rcp_f32_e32 v80, v84
	v_cmp_ne_u32_e64 s47, v85, v99
	v_div_fmas_f32 v68, v64, v70, v83
	v_div_fixup_f32 v64, v1, v39, 0.5
	v_cvt_i32_f32_e32 v1, v71
	v_div_scale_f32 v4, vcc_lo, v2, v3, v2
	s_delay_alu instid0(TRANS32_DEP_1) | instskip(SKIP_1) | instid1(VALU_DEP_4)
	v_fma_f32 v70, -v84, v80, 1.0
	v_div_fixup_f32 v68, v68, v3, v5
	v_ldexp_f32 v1, v69, v1
	s_delay_alu instid0(VALU_DEP_3) | instskip(NEXT) | instid1(VALU_DEP_2)
	v_dual_sub_f32 v69, v81, v50 :: v_dual_fmac_f32 v80, v70, v80
	v_cndmask_b32_e64 v1, 0, v1, s9
	s_add_co_i32 s9, s32, 0xb0
	s_delay_alu instid0(VALU_DEP_2) | instskip(SKIP_1) | instid1(VALU_DEP_3)
	v_mul_f32_e32 v83, v4, v80
	v_lshl_add_u32 v5, v52, 2, s9
	v_cndmask_b32_e64 v0, 0x7f800000, v1, s10
	v_add_nc_u32_e32 v52, v25, v38
	v_cmp_eq_f32_e64 s9, 1.0, v7
	v_fma_f32 v1, -v84, v83, v4
	v_mad_u32 v33, v33, 28, v5
	v_dual_mul_f32 v0, 0x40490fdb, v0 :: v_dual_sub_f32 v5, v82, v50
	s_delay_alu instid0(VALU_DEP_3) | instskip(SKIP_1) | instid1(VALU_DEP_3)
	v_dual_sub_f32 v50, v82, v49 :: v_dual_fmac_f32 v83, v1, v80
	v_cmp_lt_i32_e64 s10, 0, v52
	v_div_scale_f32 v1, null, v3, v3, v0
	s_delay_alu instid0(VALU_DEP_3) | instskip(NEXT) | instid1(VALU_DEP_4)
	v_dual_mul_f32 v70, v51, v5 :: v_dual_mul_f32 v71, v51, v50
	v_dual_fma_f32 v4, -v84, v83, v4 :: v_dual_sub_f32 v5, v81, v49
	s_delay_alu instid0(VALU_DEP_3) | instskip(NEXT) | instid1(VALU_DEP_2)
	v_rcp_f32_e32 v84, v1
	v_dual_fmac_f32 v70, v39, v69 :: v_dual_add_nc_u32 v49, v28, v48
	s_delay_alu instid0(VALU_DEP_2) | instskip(NEXT) | instid1(VALU_DEP_3)
	v_div_fmas_f32 v4, v4, v80, v83
	v_dual_fmac_f32 v71, v39, v5 :: v_dual_add_nc_u32 v83, -1, v27
	s_delay_alu instid0(VALU_DEP_3) | instskip(NEXT) | instid1(TRANS32_DEP_1)
	v_cmp_lt_i32_e64 s11, 0, v49
	v_fma_f32 v5, -v1, v84, 1.0
	s_delay_alu instid0(VALU_DEP_4)
	v_div_fixup_f32 v80, v4, v3, v2
	v_div_scale_f32 v2, vcc_lo, v0, v3, v0
	s_and_b32 s77, s10, s11
	v_fmac_f32_e32 v84, v5, v84
	s_add_co_i32 s17, s32, 0xb0
	v_dual_add_nc_u32 v86, -1, v25 :: v_dual_bitop2_b32 v87, -4, v83 bitop3:0x40
	v_lshl_add_u32 v5, v48, 2, s17
	s_delay_alu instid0(VALU_DEP_3) | instskip(SKIP_1) | instid1(VALU_DEP_4)
	v_mul_f32_e32 v4, v2, v84
	v_add_nc_u32_e32 v48, v26, v34
	v_and_b32_e32 v97, -4, v86
	v_cmp_lt_i32_e64 s12, 1, v52
	v_mad_u32 v38, v38, 28, v5
	v_dual_sub_f32 v5, v67, v37 :: v_dual_fma_f32 v81, -v1, v4, v2
	v_dual_sub_f32 v67, v67, v36 :: v_dual_sub_f32 v37, v66, v37
	v_cmp_lt_i32_e64 s20, 0, v48
	v_cmp_lt_i32_e64 s13, 1, v49
	s_delay_alu instid0(VALU_DEP_4) | instskip(SKIP_3) | instid1(VALU_DEP_4)
	v_fmac_f32_e32 v4, v81, v84
	v_dual_mul_f32 v82, v51, v5 :: v_dual_add_nc_u32 v81, v29, v35
	v_mul_f32_e32 v51, v51, v67
	v_cmp_eq_f32_e64 s17, 1.0, v20
	v_fma_f32 v1, -v1, v4, v2
	s_delay_alu instid0(VALU_DEP_4) | instskip(SKIP_2) | instid1(VALU_DEP_4)
	v_cmp_lt_i32_e64 s21, 0, v81
	v_dual_sub_f32 v2, v66, v36 :: v_dual_fmac_f32 v82, v39, v37
	v_add_nc_u32_e32 v66, -1, v26
	v_div_fmas_f32 v1, v1, v84, v4
	s_and_b32 s78, s20, s21
	s_add_co_i32 s27, s32, 0xb0
	v_dual_fmac_f32 v51, v39, v2 :: v_dual_add_nc_u32 v39, -1, v29
	s_delay_alu instid0(VALU_DEP_2) | instskip(SKIP_2) | instid1(VALU_DEP_4)
	v_div_fixup_f32 v36, v1, v3, v0
	v_lshl_add_u32 v0, v35, 2, s27
	v_dual_add_nc_u32 v35, -1, v24 :: v_dual_bitop2_b32 v101, -4, v66 bitop3:0x40
	v_and_b32_e32 v103, -4, v39
	v_cmp_lt_i32_e64 s22, 1, v48
	s_delay_alu instid0(VALU_DEP_4) | instskip(NEXT) | instid1(VALU_DEP_4)
	v_mad_u32 v34, v34, 28, v0
	v_and_b32_e32 v84, -4, v35
	v_cmp_lt_i32_e64 s23, 1, v81
	v_cmp_eq_f32_e64 s27, 1.0, v21
	v_or_b32_e32 v98, 2, v87
	v_cmp_ne_u32_e64 s43, v83, v87
	v_or_b32_e32 v96, 2, v84
	v_cmp_ne_u32_e64 s41, v35, v84
	;; [unrolled: 2-line block ×5, first 2 shown]
	s_add_co_i32 s79, s32, 0xe8
	s_add_co_i32 s60, s32, 0xb0
	s_delay_alu instid0(SALU_CYCLE_1)
	s_or_b32 s88, s60, 8
	s_branch .LBB0_225
.LBB0_223:                              ;   in Loop: Header=BB0_225 Depth=1
	s_or_b32 exec_lo, exec_lo, s93
.LBB0_224:                              ;   in Loop: Header=BB0_225 Depth=1
	s_delay_alu instid0(SALU_CYCLE_1)
	s_or_b32 exec_lo, exec_lo, s92
	s_add_co_i32 s60, s32, s91
	v_mul_f32_e32 v1, v40, v45
	s_addk_co_i32 s60, 0x90
	v_cmp_eq_u32_e32 vcc_lo, s90, v32
	scratch_load_b32 v0, off, s60
	s_add_co_i32 s90, s90, 1
	v_mul_f32_e32 v1, v1, v41
	s_or_b32 s74, vcc_lo, s74
	s_wait_loadcnt 0x0
	s_delay_alu instid0(VALU_DEP_1)
	v_fmac_f32_e32 v6, v1, v0
	s_wait_xcnt 0x0
	s_and_not1_b32 exec_lo, exec_lo, s74
	s_cbranch_execz .LBB0_464
.LBB0_225:                              ; =>This Loop Header: Depth=1
                                        ;     Child Loop BB0_231 Depth 2
                                        ;     Child Loop BB0_234 Depth 2
                                        ;     Child Loop BB0_238 Depth 2
                                        ;       Child Loop BB0_240 Depth 3
                                        ;     Child Loop BB0_245 Depth 2
                                        ;       Child Loop BB0_252 Depth 3
                                        ;         Child Loop BB0_255 Depth 4
                                        ;         Child Loop BB0_259 Depth 4
                                        ;         Child Loop BB0_265 Depth 4
                                        ;         Child Loop BB0_269 Depth 4
                                        ;         Child Loop BB0_273 Depth 4
                                        ;         Child Loop BB0_277 Depth 4
                                        ;       Child Loop BB0_281 Depth 3
                                        ;       Child Loop BB0_285 Depth 3
                                        ;       Child Loop BB0_290 Depth 3
                                        ;       Child Loop BB0_294 Depth 3
                                        ;       Child Loop BB0_298 Depth 3
                                        ;       Child Loop BB0_302 Depth 3
                                        ;     Child Loop BB0_311 Depth 2
                                        ;     Child Loop BB0_314 Depth 2
                                        ;     Child Loop BB0_318 Depth 2
                                        ;       Child Loop BB0_320 Depth 3
                                        ;     Child Loop BB0_325 Depth 2
                                        ;       Child Loop BB0_332 Depth 3
                                        ;         Child Loop BB0_335 Depth 4
                                        ;         Child Loop BB0_339 Depth 4
                                        ;         Child Loop BB0_345 Depth 4
                                        ;         Child Loop BB0_349 Depth 4
                                        ;         Child Loop BB0_353 Depth 4
                                        ;         Child Loop BB0_357 Depth 4
                                        ;       Child Loop BB0_361 Depth 3
                                        ;       Child Loop BB0_365 Depth 3
                                        ;       Child Loop BB0_370 Depth 3
                                        ;       Child Loop BB0_374 Depth 3
                                        ;       Child Loop BB0_378 Depth 3
                                        ;       Child Loop BB0_382 Depth 3
	;; [unrolled: 18-line block ×3, first 2 shown]
	s_lshl_b32 s91, s90, 2
	scratch_store_b32 off, v68, s32 offset:176
	s_add_co_i32 s60, s32, s91
	s_delay_alu instid0(SALU_CYCLE_1) | instskip(SKIP_3) | instid1(VALU_DEP_1)
	s_addk_co_i32 s60, 0x70
	scratch_load_b32 v0, off, s60
	s_wait_loadcnt 0x0
	v_dual_add_f32 v1, 1.0, v0 :: v_dual_mul_f32 v0, 0.5, v0
	v_div_scale_f32 v2, null, v1, v1, 1.0
	s_delay_alu instid0(VALU_DEP_2) | instskip(SKIP_1) | instid1(VALU_DEP_3)
	v_div_scale_f32 v3, null, v30, v30, v0
	v_div_scale_f32 v42, vcc_lo, 1.0, v1, 1.0
	v_rcp_f32_e32 v4, v2
	s_delay_alu instid0(VALU_DEP_2) | instskip(NEXT) | instid1(TRANS32_DEP_2)
	v_rcp_f32_e32 v5, v3
	v_fma_f32 v40, -v2, v4, 1.0
	s_delay_alu instid0(TRANS32_DEP_1) | instskip(NEXT) | instid1(VALU_DEP_1)
	v_fma_f32 v41, -v3, v5, 1.0
	v_dual_fmac_f32 v4, v40, v4 :: v_dual_fmac_f32 v5, v41, v5
	s_wait_xcnt 0x0
	v_div_scale_f32 v40, s60, v0, v30, v0
	s_delay_alu instid0(VALU_DEP_1) | instskip(NEXT) | instid1(VALU_DEP_1)
	v_dual_mul_f32 v41, v42, v4 :: v_dual_mul_f32 v43, v40, v5
	v_dual_fma_f32 v44, -v2, v41, v42 :: v_dual_fma_f32 v45, -v3, v43, v40
	s_delay_alu instid0(VALU_DEP_1) | instskip(NEXT) | instid1(VALU_DEP_1)
	v_dual_fmac_f32 v41, v44, v4 :: v_dual_fmac_f32 v43, v45, v5
	v_dual_fma_f32 v2, -v2, v41, v42 :: v_dual_fma_f32 v3, -v3, v43, v40
	s_delay_alu instid0(VALU_DEP_1) | instskip(SKIP_1) | instid1(VALU_DEP_2)
	v_div_fmas_f32 v2, v2, v4, v41
	s_mov_b32 vcc_lo, s60
	v_div_fmas_f32 v3, v3, v5, v43
	s_delay_alu instid0(VALU_DEP_2) | instskip(NEXT) | instid1(VALU_DEP_2)
	v_div_fixup_f32 v44, v2, v1, 1.0
	v_div_fixup_f32 v0, v3, v30, v0
	s_delay_alu instid0(VALU_DEP_1) | instskip(NEXT) | instid1(VALU_DEP_1)
	v_dual_mul_f32 v41, v0, v44 :: v_dual_mul_f32 v0, v13, v44
	v_mul_f32_e32 v2, v54, v41
	s_delay_alu instid0(VALU_DEP_2) | instskip(NEXT) | instid1(VALU_DEP_2)
	v_cvt_f64_f32_e32 v[0:1], v0
	v_cvt_f64_f32_e32 v[2:3], v2
	s_delay_alu instid0(VALU_DEP_1) | instskip(NEXT) | instid1(VALU_DEP_1)
	v_fmac_f64_e32 v[0:1], 2.0, v[2:3]
	v_cvt_f32_f64_e32 v0, v[0:1]
	s_and_saveexec_b32 s60, s3
	s_cbranch_execz .LBB0_227
; %bb.226:                              ;   in Loop: Header=BB0_225 Depth=1
	s_delay_alu instid0(VALU_DEP_1)
	v_mul_f32_e32 v1, v68, v0
	scratch_store_b32 off, v1, s32 offset:204
.LBB0_227:                              ;   in Loop: Header=BB0_225 Depth=1
	s_wait_xcnt 0x0
	s_or_b32 exec_lo, exec_lo, s60
	v_dual_mul_f32 v1, v16, v44 :: v_dual_mul_f32 v4, v55, v41
	s_delay_alu instid0(VALU_DEP_1) | instskip(NEXT) | instid1(VALU_DEP_2)
	v_cvt_f64_f32_e32 v[2:3], v1
	v_cvt_f64_f32_e32 v[4:5], v4
	s_delay_alu instid0(VALU_DEP_1) | instskip(NEXT) | instid1(VALU_DEP_1)
	v_fmac_f64_e32 v[2:3], 2.0, v[4:5]
	v_cvt_f32_f64_e32 v2, v[2:3]
	s_and_saveexec_b32 s60, s4
	s_cbranch_execz .LBB0_229
; %bb.228:                              ;   in Loop: Header=BB0_225 Depth=1
	s_delay_alu instid0(VALU_DEP_1)
	v_mul_f32_e32 v1, v68, v2
	scratch_store_b32 off, v1, s32 offset:180
.LBB0_229:                              ;   in Loop: Header=BB0_225 Depth=1
	s_wait_xcnt 0x0
	s_or_b32 exec_lo, exec_lo, s60
	v_fma_f32 v43, v64, v44, v41
	s_and_saveexec_b32 s60, s5
	s_cbranch_execz .LBB0_232
; %bb.230:                              ;   in Loop: Header=BB0_225 Depth=1
	scratch_load_b32 v1, off, s32 offset:204
	s_mov_b32 s61, 1
	s_mov_b32 s62, 0
	;; [unrolled: 1-line block ×3, first 2 shown]
.LBB0_231:                              ;   Parent Loop BB0_225 Depth=1
                                        ; =>  This Inner Loop Header: Depth=2
	scratch_load_b32 v3, off, s63 offset:-56
	s_cvt_f32_i32 s72, s61
	s_add_co_i32 s61, s61, 1
	s_delay_alu instid0(SALU_CYCLE_1) | instskip(NEXT) | instid1(SALU_CYCLE_1)
	v_cmp_eq_u32_e32 vcc_lo, s61, v9
	v_mul_f32_e32 v4, s72, v43
	s_wait_loadcnt 0x0
	s_delay_alu instid0(VALU_DEP_1) | instskip(NEXT) | instid1(VALU_DEP_1)
	v_mul_f32_e32 v3, v3, v4
	v_fmac_f32_e32 v3, v1, v0
	s_delay_alu instid0(VALU_DEP_1) | instskip(SKIP_4) | instid1(SALU_CYCLE_1)
	v_mov_b32_e32 v1, v3
	scratch_store_b32 off, v3, s63
	s_wait_xcnt 0x0
	s_add_co_i32 s63, s63, 28
	s_or_b32 s62, vcc_lo, s62
	s_and_not1_b32 exec_lo, exec_lo, s62
	s_cbranch_execnz .LBB0_231
.LBB0_232:                              ;   in Loop: Header=BB0_225 Depth=1
	s_or_b32 exec_lo, exec_lo, s60
	v_fma_f32 v42, v65, v44, v41
	s_and_saveexec_b32 s60, s6
	s_cbranch_execz .LBB0_235
; %bb.233:                              ;   in Loop: Header=BB0_225 Depth=1
	scratch_load_b32 v0, off, s32 offset:180
	s_mov_b32 s61, 1
	s_mov_b32 s62, 0
	;; [unrolled: 1-line block ×3, first 2 shown]
.LBB0_234:                              ;   Parent Loop BB0_225 Depth=1
                                        ; =>  This Inner Loop Header: Depth=2
	scratch_load_b32 v1, off, s63 offset:-8
	s_cvt_f32_i32 s72, s61
	s_add_co_i32 s61, s61, 1
	s_delay_alu instid0(SALU_CYCLE_1) | instskip(NEXT) | instid1(SALU_CYCLE_1)
	v_cmp_eq_u32_e32 vcc_lo, s61, v12
	v_mul_f32_e32 v3, s72, v42
	s_wait_loadcnt 0x0
	s_delay_alu instid0(VALU_DEP_1) | instskip(NEXT) | instid1(VALU_DEP_1)
	v_mul_f32_e32 v1, v1, v3
	v_fmac_f32_e32 v1, v0, v2
	s_delay_alu instid0(VALU_DEP_1) | instskip(SKIP_4) | instid1(SALU_CYCLE_1)
	v_mov_b32_e32 v0, v1
	scratch_store_b32 off, v1, s63
	s_wait_xcnt 0x0
	s_add_co_i32 s63, s63, 4
	s_or_b32 s62, vcc_lo, s62
	s_and_not1_b32 exec_lo, exec_lo, s62
	s_cbranch_execnz .LBB0_234
.LBB0_235:                              ;   in Loop: Header=BB0_225 Depth=1
	s_or_b32 exec_lo, exec_lo, s60
	s_and_saveexec_b32 s60, s76
	s_cbranch_execz .LBB0_241
; %bb.236:                              ;   in Loop: Header=BB0_225 Depth=1
	s_mov_b32 s63, 1
	s_mov_b32 s61, 0
	s_mov_b32 s62, s75
	s_branch .LBB0_238
.LBB0_237:                              ;   in Loop: Header=BB0_238 Depth=2
	s_or_b32 exec_lo, exec_lo, s72
	v_cmp_eq_u32_e32 vcc_lo, s63, v9
	s_add_co_i32 s63, s63, 1
	s_add_co_i32 s62, s62, 28
	s_or_b32 s61, vcc_lo, s61
	s_delay_alu instid0(SALU_CYCLE_1)
	s_and_not1_b32 exec_lo, exec_lo, s61
	s_cbranch_execz .LBB0_241
.LBB0_238:                              ;   Parent Loop BB0_225 Depth=1
                                        ; =>  This Loop Header: Depth=2
                                        ;       Child Loop BB0_240 Depth 3
	s_mul_i32 s72, s63, 28
	s_delay_alu instid0(SALU_CYCLE_1) | instskip(NEXT) | instid1(SALU_CYCLE_1)
	s_add_co_i32 s92, s32, s72
	s_add_co_i32 s72, s92, 0xb0
	s_cvt_f32_u32 s92, s63
	s_clause 0x1
	scratch_load_b32 v1, off, s72
	scratch_load_b32 v4, off, s72 offset:-28
	s_wait_loadcnt 0x1
	v_dual_mul_f32 v0, s92, v41 :: v_dual_mul_f32 v3, v1, v2
	s_wait_loadcnt 0x0
	s_delay_alu instid0(VALU_DEP_1)
	v_fmac_f32_e32 v3, v4, v0
	scratch_store_b32 off, v3, s72 offset:4
	s_wait_xcnt 0x0
	s_and_saveexec_b32 s72, s6
	s_cbranch_execz .LBB0_237
; %bb.239:                              ;   in Loop: Header=BB0_238 Depth=2
	s_mov_b32 s92, 1
	s_mov_b32 s93, 0
	;; [unrolled: 1-line block ×3, first 2 shown]
.LBB0_240:                              ;   Parent Loop BB0_225 Depth=1
                                        ;     Parent Loop BB0_238 Depth=2
                                        ; =>    This Inner Loop Header: Depth=3
	s_clause 0x1
	scratch_load_b32 v5, off, s94
	scratch_load_b32 v4, off, s94 offset:-24
	s_cvt_f32_i32 s95, s92
	s_add_co_i32 s92, s92, 1
	s_delay_alu instid0(SALU_CYCLE_1) | instskip(NEXT) | instid1(SALU_CYCLE_1)
	v_cmp_eq_u32_e32 vcc_lo, s92, v12
	v_mul_f32_e32 v1, s95, v42
	s_wait_loadcnt 0x0
	s_delay_alu instid0(VALU_DEP_1) | instskip(NEXT) | instid1(VALU_DEP_1)
	v_pk_mul_f32 v[4:5], v[0:1], v[4:5]
	v_add_f32_e32 v1, v4, v5
	s_delay_alu instid0(VALU_DEP_1) | instskip(NEXT) | instid1(VALU_DEP_1)
	v_fmac_f32_e32 v1, v3, v2
	v_mov_b32_e32 v3, v1
	scratch_store_b32 off, v1, s94 offset:8
	s_wait_xcnt 0x0
	s_add_co_i32 s94, s94, 4
	s_or_b32 s93, vcc_lo, s93
	s_delay_alu instid0(SALU_CYCLE_1)
	s_and_not1_b32 exec_lo, exec_lo, s93
	s_cbranch_execnz .LBB0_240
	s_branch .LBB0_237
.LBB0_241:                              ;   in Loop: Header=BB0_225 Depth=1
	s_or_b32 exec_lo, exec_lo, s60
	v_mov_b32_e32 v40, 0
	s_and_saveexec_b32 s92, s0
	s_cbranch_execz .LBB0_305
; %bb.242:                              ;   in Loop: Header=BB0_225 Depth=1
	v_dual_mov_b32 v40, 0 :: v_dual_mov_b32 v45, v115
	v_mov_b32_e32 v46, v83
	s_mov_b32 s94, -1
	s_mov_b32 s93, 0
	s_mov_b32 s95, 0
	s_branch .LBB0_245
.LBB0_243:                              ;   in Loop: Header=BB0_245 Depth=2
	s_or_b32 exec_lo, exec_lo, s60
.LBB0_244:                              ;   in Loop: Header=BB0_245 Depth=2
	s_delay_alu instid0(SALU_CYCLE_1) | instskip(SKIP_1) | instid1(VALU_DEP_3)
	s_or_b32 exec_lo, exec_lo, vcc_hi
	v_cvt_f32_i32_e32 v0, v5
	v_mul_lo_u32 v1, v1, s72
	s_add_co_i32 s94, s94, 1
	v_dual_add_nc_u32 v46, -1, v46 :: v_dual_add_nc_u32 v45, -1, v45
	s_delay_alu instid0(VALU_DEP_3) | instskip(NEXT) | instid1(VALU_DEP_1)
	v_cndmask_b32_e64 v2, v0, 1.0, s9
	v_cmp_neq_f32_e32 vcc_lo, 0, v2
	v_cndmask_b32_e32 v0, 1.0, v7, vcc_lo
	s_delay_alu instid0(VALU_DEP_1) | instskip(NEXT) | instid1(VALU_DEP_1)
	v_frexp_mant_f32_e64 v3, |v0|
	v_cmp_gt_f32_e32 vcc_lo, 0x3f2aaaab, v3
	v_cndmask_b32_e64 v5, 1.0, 2.0, vcc_lo
	s_delay_alu instid0(VALU_DEP_1) | instskip(SKIP_1) | instid1(VALU_DEP_2)
	v_mul_f32_e32 v3, v3, v5
	v_cmp_eq_f32_e64 s72, 0, v0
	v_dual_add_f32 v5, 1.0, v3 :: v_dual_add_f32 v57, -1.0, v3
	s_delay_alu instid0(VALU_DEP_1)
	v_rcp_f32_e32 v62, v5
	v_add_f32_e32 v56, -1.0, v5
	s_delay_alu instid0(TRANS32_DEP_1) | instid1(VALU_DEP_1)
	v_dual_sub_f32 v3, v3, v56 :: v_dual_mul_f32 v63, v57, v62
	s_delay_alu instid0(VALU_DEP_1) | instskip(NEXT) | instid1(VALU_DEP_1)
	v_mul_f32_e32 v58, v5, v63
	v_fma_f32 v60, v63, v5, -v58
	s_delay_alu instid0(VALU_DEP_1) | instskip(NEXT) | instid1(VALU_DEP_1)
	v_fmac_f32_e32 v60, v63, v3
	v_add_f32_e32 v56, v58, v60
	s_delay_alu instid0(VALU_DEP_1) | instskip(NEXT) | instid1(VALU_DEP_1)
	v_dual_sub_f32 v59, v57, v56 :: v_dual_mov_b32 v61, v56
	v_pk_add_f32 v[56:57], v[56:57], v[58:59] neg_lo:[0,1] neg_hi:[0,1]
	s_delay_alu instid0(VALU_DEP_1) | instskip(SKIP_1) | instid1(VALU_DEP_2)
	v_pk_add_f32 v[56:57], v[56:57], v[60:61] neg_lo:[0,1] neg_hi:[0,1]
	v_cvt_f64_f32_e64 v[60:61], |v0|
	v_add_f32_e32 v3, v56, v57
	s_delay_alu instid0(VALU_DEP_1) | instskip(NEXT) | instid1(VALU_DEP_1)
	v_add_f32_e32 v3, v59, v3
	v_mul_f32_e32 v3, v62, v3
	s_delay_alu instid0(VALU_DEP_1) | instskip(NEXT) | instid1(VALU_DEP_1)
	v_add_f32_e32 v56, v63, v3
	v_dual_sub_f32 v5, v56, v63 :: v_dual_mul_f32 v57, v56, v56
	s_delay_alu instid0(VALU_DEP_1) | instskip(SKIP_1) | instid1(VALU_DEP_2)
	v_dual_sub_f32 v3, v3, v5 :: v_dual_fma_f32 v5, v56, v56, -v57
	v_frexp_exp_i32_f64_e32 v74, v[60:61]
	v_add_f32_e32 v58, v3, v3
	s_delay_alu instid0(VALU_DEP_1) | instskip(NEXT) | instid1(VALU_DEP_1)
	v_fmac_f32_e32 v5, v56, v58
	v_add_f32_e32 v58, v57, v5
	s_delay_alu instid0(VALU_DEP_1) | instskip(SKIP_1) | instid1(VALU_DEP_1)
	v_fmaak_f32 v59, s89, v58, 0x3e91f4c4
	v_sub_f32_e32 v57, v58, v57
	v_sub_f32_e32 v5, v5, v57
	s_delay_alu instid0(VALU_DEP_3) | instskip(NEXT) | instid1(VALU_DEP_1)
	v_fmaak_f32 v59, v58, v59, 0x3ecccdef
	v_mul_f32_e32 v62, v58, v59
	s_delay_alu instid0(VALU_DEP_1) | instskip(NEXT) | instid1(VALU_DEP_1)
	v_fma_f32 v57, v58, v59, -v62
	v_fmac_f32_e32 v57, v5, v59
	s_delay_alu instid0(VALU_DEP_1) | instskip(NEXT) | instid1(VALU_DEP_1)
	v_add_f32_e32 v59, v62, v57
	v_sub_f32_e32 v62, v59, v62
	s_delay_alu instid0(VALU_DEP_1) | instskip(SKIP_1) | instid1(VALU_DEP_2)
	v_sub_f32_e32 v57, v57, v62
	v_add_f32_e32 v63, 0x3f2aaaaa, v59
	v_add_f32_e32 v57, 0x31739010, v57
	s_delay_alu instid0(VALU_DEP_2) | instskip(NEXT) | instid1(VALU_DEP_1)
	v_add_f32_e32 v62, 0xbf2aaaaa, v63
	v_sub_f32_e32 v59, v59, v62
	s_delay_alu instid0(VALU_DEP_1) | instskip(NEXT) | instid1(VALU_DEP_1)
	v_pk_mul_f32 v[60:61], v[56:57], v[58:59]
	v_fma_f32 v62, v58, v56, -v60
	v_pk_add_f32 v[72:73], v[56:57], v[58:59]
	s_delay_alu instid0(VALU_DEP_1) | instskip(SKIP_1) | instid1(VALU_DEP_2)
	v_dual_fmac_f32 v62, v58, v3 :: v_dual_mov_b32 v61, v73
	v_ldexp_f32 v3, v3, 1
	v_fmac_f32_e32 v62, v5, v56
	v_subrev_co_ci_u32_e64 v5, null, 0, v74, vcc_lo
	s_delay_alu instid0(VALU_DEP_2) | instskip(NEXT) | instid1(VALU_DEP_2)
	v_pk_add_f32 v[58:59], v[60:61], v[62:63]
	v_cvt_f32_i32_e32 v5, v5
	s_delay_alu instid0(VALU_DEP_2) | instskip(NEXT) | instid1(VALU_DEP_3)
	v_mov_b32_e32 v72, v59
	v_dual_sub_f32 v57, v63, v59 :: v_dual_sub_f32 v61, v58, v60
	s_delay_alu instid0(VALU_DEP_2) | instskip(NEXT) | instid1(VALU_DEP_2)
	v_pk_mul_f32 v[74:75], v[58:59], v[72:73]
	v_add_f32_e32 v57, v73, v57
	s_delay_alu instid0(VALU_DEP_3) | instskip(NEXT) | instid1(VALU_DEP_3)
	v_sub_f32_e32 v61, v62, v61
	v_fma_f32 v60, v58, v59, -v74
	s_delay_alu instid0(VALU_DEP_1) | instskip(NEXT) | instid1(VALU_DEP_1)
	v_fmac_f32_e32 v60, v58, v57
	v_fmac_f32_e32 v60, v61, v59
	v_mul_f32_e32 v72, 0x3f317218, v5
	v_ldexp_f32 v59, v56, 1
	s_delay_alu instid0(VALU_DEP_3) | instskip(NEXT) | instid1(VALU_DEP_3)
	v_add_f32_e32 v73, v74, v60
	v_fma_f32 v58, 0x3f317218, v5, -v72
	s_delay_alu instid0(VALU_DEP_2) | instskip(NEXT) | instid1(VALU_DEP_2)
	v_dual_mov_b32 v75, v59 :: v_dual_mov_b32 v62, v73
	v_dual_fmac_f32 v58, 0xb102e308, v5 :: v_dual_mov_b32 v61, v73
	v_sub_nc_u32_e32 v5, 0, v1
	s_delay_alu instid0(VALU_DEP_2) | instskip(NEXT) | instid1(VALU_DEP_2)
	v_pk_add_f32 v[56:57], v[72:73], v[58:59]
	v_max_i32_e32 v5, v1, v5
	s_delay_alu instid0(VALU_DEP_2) | instskip(NEXT) | instid1(VALU_DEP_3)
	v_dual_mov_b32 v63, v57 :: v_dual_bitop2_b32 v1, v4, v1 bitop3:0x14
	v_mov_b32_e32 v59, v56
	s_delay_alu instid0(VALU_DEP_2) | instskip(NEXT) | instid1(VALU_DEP_1)
	v_pk_add_f32 v[62:63], v[62:63], v[74:75] neg_lo:[0,1] neg_hi:[0,1]
	v_pk_add_f32 v[60:61], v[60:61], v[62:63] neg_lo:[0,1] neg_hi:[0,1]
	s_delay_alu instid0(VALU_DEP_1) | instskip(NEXT) | instid1(VALU_DEP_1)
	v_add_f32_e32 v3, v3, v60
	v_add_f32_e32 v73, v3, v61
	s_delay_alu instid0(VALU_DEP_1) | instskip(SKIP_1) | instid1(VALU_DEP_2)
	v_pk_add_f32 v[60:61], v[56:57], v[72:73]
	v_pk_add_f32 v[62:63], v[56:57], v[72:73] neg_lo:[0,1] neg_hi:[0,1]
	v_dual_mov_b32 v78, v57 :: v_dual_mov_b32 v63, v61
	s_delay_alu instid0(VALU_DEP_1) | instskip(NEXT) | instid1(VALU_DEP_1)
	v_pk_add_f32 v[74:75], v[58:59], v[62:63]
	v_dual_mov_b32 v74, v61 :: v_dual_mov_b32 v72, v75
	v_pk_add_f32 v[58:59], v[58:59], v[62:63] neg_lo:[0,1] neg_hi:[0,1]
	s_delay_alu instid0(VALU_DEP_2) | instskip(SKIP_1) | instid1(VALU_DEP_2)
	v_pk_add_f32 v[76:77], v[72:73], v[56:57] neg_lo:[0,1] neg_hi:[0,1]
	v_dual_mov_b32 v57, v56 :: v_dual_mov_b32 v56, v73
	v_dual_mov_b32 v3, v76 :: v_dual_mov_b32 v79, v76
	s_delay_alu instid0(VALU_DEP_1) | instskip(NEXT) | instid1(VALU_DEP_2)
	v_pk_add_f32 v[60:61], v[60:61], v[2:3] neg_lo:[0,1] neg_hi:[0,1]
	v_pk_add_f32 v[62:63], v[74:75], v[78:79] neg_lo:[0,1] neg_hi:[0,1]
	v_mov_b32_e32 v60, v58
	s_delay_alu instid0(VALU_DEP_2) | instskip(NEXT) | instid1(VALU_DEP_1)
	v_pk_add_f32 v[56:57], v[56:57], v[62:63] neg_lo:[0,1] neg_hi:[0,1]
	v_pk_add_f32 v[60:61], v[60:61], v[56:57]
	s_delay_alu instid0(VALU_DEP_1) | instskip(NEXT) | instid1(VALU_DEP_1)
	v_mov_b32_e32 v62, v61
	v_pk_add_f32 v[62:63], v[60:61], v[62:63]
	s_delay_alu instid0(VALU_DEP_1) | instskip(NEXT) | instid1(VALU_DEP_1)
	v_pk_add_f32 v[72:73], v[72:73], v[62:63]
	v_dual_mov_b32 v59, v75 :: v_dual_mov_b32 v61, v72
	s_delay_alu instid0(VALU_DEP_1) | instskip(SKIP_2) | instid1(VALU_DEP_3)
	v_pk_add_f32 v[74:75], v[60:61], v[58:59] neg_lo:[0,1] neg_hi:[0,1]
	v_mov_b32_e32 v57, v62
	v_cvt_f32_u32_e32 v59, v5
	v_sub_f32_e32 v3, v60, v74
	s_delay_alu instid0(VALU_DEP_3) | instskip(NEXT) | instid1(VALU_DEP_2)
	v_pk_add_f32 v[56:57], v[56:57], v[74:75] neg_lo:[0,1] neg_hi:[0,1]
	v_sub_f32_e32 v3, v58, v3
	s_delay_alu instid0(VALU_DEP_1) | instskip(NEXT) | instid1(VALU_DEP_1)
	v_add_f32_e32 v3, v56, v3
	v_add_f32_e32 v3, v3, v57
	s_delay_alu instid0(VALU_DEP_1) | instskip(NEXT) | instid1(VALU_DEP_1)
	v_add_f32_e32 v56, v72, v3
	v_sub_f32_e32 v57, v56, v72
	s_delay_alu instid0(VALU_DEP_1) | instskip(SKIP_2) | instid1(VALU_DEP_1)
	v_dual_sub_f32 v3, v3, v57 :: v_dual_sub_nc_u32 v72, 0, v4
	v_mul_f32_e32 v58, v2, v56
	v_rcp_iflag_f32_e32 v57, v59
	v_dual_sub_nc_u32 v59, 0, v5 :: v_dual_fma_f32 v56, v2, v56, -v58
	s_delay_alu instid0(VALU_DEP_1) | instskip(SKIP_1) | instid1(VALU_DEP_2)
	v_fmac_f32_e32 v56, v2, v3
	v_cmp_class_f32_e64 vcc_lo, v58, 0x204
	v_add_f32_e32 v3, v58, v56
	s_delay_alu instid0(TRANS32_DEP_1) | instid1(VALU_DEP_1)
	v_dual_mul_f32 v57, 0x4f7ffffe, v57 :: v_dual_cndmask_b32 v60, v3, v58
	s_delay_alu instid0(VALU_DEP_1) | instskip(NEXT) | instid1(VALU_DEP_2)
	v_cvt_u32_f32_e32 v57, v57
	v_cmp_eq_f32_e32 vcc_lo, 0x42b17218, v60
	s_delay_alu instid0(VALU_DEP_2) | instskip(SKIP_3) | instid1(VALU_DEP_2)
	v_mul_lo_u32 v59, v59, v57
	v_cmp_neq_f32_e64 s60, 0x7f800000, |v60|
	v_cndmask_b32_e64 v61, 0, 0x37000000, vcc_lo
	v_cmp_gt_f32_e32 vcc_lo, 0, v2
	v_dual_sub_f32 v62, v60, v61 :: v_dual_sub_f32 v3, v3, v58
	v_mul_hi_u32 v59, v57, v59
	s_delay_alu instid0(VALU_DEP_2) | instskip(NEXT) | instid1(VALU_DEP_3)
	v_dual_mul_f32 v63, 0x3fb8aa3b, v62 :: v_dual_max_i32 v72, v4, v72
	v_sub_f32_e32 v3, v56, v3
	v_cmp_ngt_f32_e64 s61, 0xc2ce8ed0, v62
	s_delay_alu instid0(VALU_DEP_3) | instskip(SKIP_1) | instid1(VALU_DEP_1)
	v_fma_f32 v73, 0x3fb8aa3b, v62, -v63
	v_rndne_f32_e32 v74, v63
	v_dual_add_nc_u32 v57, v57, v59 :: v_dual_sub_f32 v59, v63, v74
	v_trunc_f32_e32 v63, v2
	s_delay_alu instid0(VALU_DEP_2) | instskip(SKIP_1) | instid1(VALU_DEP_3)
	v_mul_hi_u32 v57, v72, v57
	v_fmac_f32_e32 v73, 0x32a5705f, v62
	v_cmp_eq_f32_e64 s62, v63, v2
	s_delay_alu instid0(VALU_DEP_2) | instskip(NEXT) | instid1(VALU_DEP_1)
	v_dual_add_f32 v59, v59, v73 :: v_dual_mul_f32 v73, 0.5, v2
	v_exp_f32_e32 v58, v59
	v_nop
	v_cvt_i32_f32_e32 v59, v74
	v_mul_lo_u32 v74, v57, v5
	s_delay_alu instid0(TRANS32_DEP_1) | instid1(VALU_DEP_2)
	v_ldexp_f32 v56, v58, v59
	v_trunc_f32_e32 v58, v73
	v_cndmask_b32_e64 v2, 0, v3, s60
	v_cmp_nlt_f32_e64 s60, 0x42b17218, v62
	s_delay_alu instid0(VALU_DEP_4) | instskip(NEXT) | instid1(VALU_DEP_4)
	v_cndmask_b32_e64 v3, 0, v56, s61
	v_cmp_neq_f32_e64 s61, v58, v73
	v_add_nc_u32_e32 v56, 1, v57
	s_delay_alu instid0(VALU_DEP_3) | instskip(SKIP_1) | instid1(SALU_CYCLE_1)
	v_cndmask_b32_e64 v3, 0x7f800000, v3, s60
	s_and_b32 s60, s62, s61
	v_dual_sub_nc_u32 v4, v72, v74 :: v_dual_cndmask_b32 v59, 1.0, v0, s60
	v_add_f32_e32 v2, v61, v2
	s_delay_alu instid0(VALU_DEP_3) | instskip(NEXT) | instid1(VALU_DEP_3)
	v_cmp_class_f32_e64 s63, v3, 0x204
	v_cmp_ge_u32_e64 s61, v4, v5
	s_delay_alu instid0(VALU_DEP_3) | instskip(NEXT) | instid1(VALU_DEP_1)
	v_dual_sub_nc_u32 v58, v4, v5 :: v_dual_fma_f32 v2, v3, v2, v3
	v_dual_cndmask_b32 v56, v57, v56, s61 :: v_dual_cndmask_b32 v4, v4, v58, s61
	s_delay_alu instid0(VALU_DEP_2) | instskip(SKIP_1) | instid1(VALU_DEP_2)
	v_dual_cndmask_b32 v2, v2, v3, s63 :: v_dual_ashrrev_i32 v1, 31, v1
	s_xor_b32 s63, vcc_lo, s72
	v_add_nc_u32_e32 v3, 1, v56
	s_delay_alu instid0(VALU_DEP_3) | instskip(NEXT) | instid1(VALU_DEP_3)
	v_cmp_ge_u32_e32 vcc_lo, v4, v5
	v_bfi_b32 v2, 0x7fffffff, v2, v59
	v_cmp_gt_f32_e64 s61, 0, v0
	v_cndmask_b32_e64 v4, 0x7f800000, 0, s63
	v_dual_cndmask_b32 v5, 0, v0, s60 :: v_dual_cndmask_b32 v3, v56, v3, vcc_lo
	s_delay_alu instid0(VALU_DEP_4) | instskip(SKIP_2) | instid1(VALU_DEP_4)
	v_cndmask_b32_e64 v56, 0x7fc00000, v2, s62
	v_cmp_class_f32_e64 s60, v0, 0x204
	v_cmp_o_f32_e32 vcc_lo, v0, v0
	v_bfi_b32 v4, 0x7fffffff, v4, v5
	s_delay_alu instid0(VALU_DEP_4)
	v_dual_cndmask_b32 v2, v2, v56, s61 :: v_dual_bitop2_b32 v3, v3, v1 bitop3:0x14
	s_or_b32 s60, s72, s60
	s_delay_alu instid0(VALU_DEP_1) | instid1(SALU_CYCLE_1)
	v_dual_sub_nc_u32 v0, v3, v1 :: v_dual_cndmask_b32 v1, v2, v4, s60
	s_add_co_i32 s60, s95, 1
	s_delay_alu instid0(VALU_DEP_1) | instskip(NEXT) | instid1(VALU_DEP_2)
	v_cvt_f32_i32_e32 v0, v0
	v_cndmask_b32_e32 v1, 0x7fc00000, v1, vcc_lo
	v_cmp_eq_u32_e32 vcc_lo, s95, v27
	s_mov_b32 s95, s60
	s_delay_alu instid0(VALU_DEP_2) | instskip(SKIP_1) | instid1(VALU_DEP_1)
	v_mul_f32_e32 v0, v1, v0
	s_or_b32 s93, vcc_lo, s93
	v_fmac_f32_e32 v40, v47, v0
	s_and_not1_b32 exec_lo, exec_lo, s93
	s_cbranch_execz .LBB0_304
.LBB0_245:                              ;   Parent Loop BB0_225 Depth=1
                                        ; =>  This Loop Header: Depth=2
                                        ;       Child Loop BB0_252 Depth 3
                                        ;         Child Loop BB0_255 Depth 4
                                        ;         Child Loop BB0_259 Depth 4
	;; [unrolled: 1-line block ×6, first 2 shown]
                                        ;       Child Loop BB0_281 Depth 3
                                        ;       Child Loop BB0_285 Depth 3
	;; [unrolled: 1-line block ×6, first 2 shown]
	v_mov_b32_e32 v47, 0
	s_and_saveexec_b32 vcc_hi, s1
	s_cbranch_execnz .LBB0_248
; %bb.246:                              ;   in Loop: Header=BB0_245 Depth=2
	s_or_b32 exec_lo, exec_lo, vcc_hi
	v_mov_b32_e32 v4, 1
	s_and_saveexec_b32 s72, s8
	s_cbranch_execnz .LBB0_279
.LBB0_247:                              ;   in Loop: Header=BB0_245 Depth=2
	s_or_b32 exec_lo, exec_lo, s72
	s_cmp_lt_u32 s95, 2
	s_mov_b32 s72, 1
	s_cbranch_scc0 .LBB0_288
	s_branch .LBB0_295
.LBB0_248:                              ;   in Loop: Header=BB0_245 Depth=2
	v_lshl_add_u32 v56, s95, 2, v33
	v_dual_mov_b32 v47, 0 :: v_dual_mov_b32 v57, v114
	v_mov_b32_e32 v58, v35
	s_mov_b32 s31, -1
	s_mov_b32 s30, 0
	s_mov_b32 s34, 0
	s_branch .LBB0_252
.LBB0_249:                              ;   in Loop: Header=BB0_252 Depth=3
	s_or_b32 exec_lo, exec_lo, s61
.LBB0_250:                              ;   in Loop: Header=BB0_252 Depth=3
	s_delay_alu instid0(SALU_CYCLE_1)
	s_or_b32 exec_lo, exec_lo, s60
.LBB0_251:                              ;   in Loop: Header=BB0_252 Depth=3
	s_delay_alu instid0(SALU_CYCLE_1)
	s_or_b32 exec_lo, exec_lo, s35
	v_cvt_f32_i32_e32 v0, v4
	s_mul_i32 s60, s34, 28
	s_add_co_i32 s31, s31, 1
	scratch_load_b32 v90, v56, s60
	v_add_nc_u32_e32 v58, -1, v58
	v_cndmask_b32_e64 v62, v0, 1.0, s7
	v_add_nc_u32_e32 v57, -1, v57
	s_delay_alu instid0(VALU_DEP_2) | instskip(SKIP_1) | instid1(VALU_DEP_1)
	v_cmp_neq_f32_e32 vcc_lo, 0, v62
	v_cndmask_b32_e32 v61, 1.0, v8, vcc_lo
	v_frexp_mant_f32_e64 v0, |v61|
	s_delay_alu instid0(VALU_DEP_1) | instskip(SKIP_1) | instid1(VALU_DEP_1)
	v_cmp_gt_f32_e32 vcc_lo, 0x3f2aaaab, v0
	v_cndmask_b32_e64 v1, 1.0, 2.0, vcc_lo
	v_mul_f32_e32 v0, v0, v1
	v_cmp_eq_f32_e64 s61, 0, v61
	s_delay_alu instid0(VALU_DEP_2) | instskip(NEXT) | instid1(VALU_DEP_1)
	v_dual_add_f32 v3, 1.0, v0 :: v_dual_add_f32 v1, -1.0, v0
	v_rcp_f32_e32 v63, v3
	v_add_f32_e32 v4, -1.0, v3
	s_delay_alu instid0(TRANS32_DEP_1) | instid1(VALU_DEP_1)
	v_dual_sub_f32 v0, v0, v4 :: v_dual_mul_f32 v72, v1, v63
	s_delay_alu instid0(VALU_DEP_1) | instskip(NEXT) | instid1(VALU_DEP_1)
	v_mul_f32_e32 v2, v3, v72
	v_fma_f32 v4, v72, v3, -v2
	s_delay_alu instid0(VALU_DEP_1) | instskip(NEXT) | instid1(VALU_DEP_1)
	v_fmac_f32_e32 v4, v72, v0
	v_add_f32_e32 v0, v2, v4
	s_delay_alu instid0(VALU_DEP_1) | instskip(NEXT) | instid1(VALU_DEP_1)
	v_dual_sub_f32 v3, v1, v0 :: v_dual_mov_b32 v5, v0
	v_pk_add_f32 v[0:1], v[0:1], v[2:3] neg_lo:[0,1] neg_hi:[0,1]
	s_delay_alu instid0(VALU_DEP_1) | instskip(NEXT) | instid1(VALU_DEP_1)
	v_pk_add_f32 v[0:1], v[0:1], v[4:5] neg_lo:[0,1] neg_hi:[0,1]
	v_add_f32_e32 v0, v0, v1
	s_delay_alu instid0(VALU_DEP_1) | instskip(NEXT) | instid1(VALU_DEP_1)
	v_add_f32_e32 v0, v3, v0
	v_mul_f32_e32 v1, v63, v0
	s_delay_alu instid0(VALU_DEP_1) | instskip(NEXT) | instid1(VALU_DEP_1)
	v_add_f32_e32 v0, v72, v1
	v_sub_f32_e32 v2, v0, v72
	s_delay_alu instid0(VALU_DEP_1) | instskip(NEXT) | instid1(VALU_DEP_1)
	v_dual_mul_f32 v3, v0, v0 :: v_dual_sub_f32 v63, v1, v2
	v_dual_add_f32 v2, v63, v63 :: v_dual_fma_f32 v1, v0, v0, -v3
	s_delay_alu instid0(VALU_DEP_1) | instskip(NEXT) | instid1(VALU_DEP_1)
	v_fmac_f32_e32 v1, v0, v2
	v_add_f32_e32 v2, v3, v1
	s_delay_alu instid0(VALU_DEP_1) | instskip(NEXT) | instid1(VALU_DEP_1)
	v_dual_fmaak_f32 v4, s89, v2, 0x3e91f4c4 :: v_dual_sub_f32 v3, v2, v3
	v_fmaak_f32 v72, v2, v4, 0x3ecccdef
	v_cvt_f64_f32_e64 v[4:5], |v61|
	s_delay_alu instid0(VALU_DEP_2) | instskip(NEXT) | instid1(VALU_DEP_1)
	v_dual_sub_f32 v76, v1, v3 :: v_dual_mul_f32 v73, v2, v72
	v_fma_f32 v1, v2, v72, -v73
	s_delay_alu instid0(VALU_DEP_1) | instskip(NEXT) | instid1(VALU_DEP_1)
	v_fmac_f32_e32 v1, v76, v72
	v_add_f32_e32 v3, v73, v1
	s_delay_alu instid0(VALU_DEP_1) | instskip(NEXT) | instid1(VALU_DEP_1)
	v_dual_sub_f32 v72, v3, v73 :: v_dual_add_f32 v73, 0x3f2aaaaa, v3
	v_dual_sub_f32 v1, v1, v72 :: v_dual_add_f32 v72, 0xbf2aaaaa, v73
	v_frexp_exp_i32_f64_e32 v77, v[4:5]
	s_delay_alu instid0(VALU_DEP_2) | instskip(NEXT) | instid1(VALU_DEP_3)
	v_add_f32_e32 v1, 0x31739010, v1
	v_sub_f32_e32 v3, v3, v72
	s_delay_alu instid0(VALU_DEP_1) | instskip(NEXT) | instid1(VALU_DEP_1)
	v_pk_mul_f32 v[4:5], v[0:1], v[2:3]
	v_fma_f32 v72, v2, v0, -v4
	s_delay_alu instid0(VALU_DEP_1) | instskip(SKIP_1) | instid1(VALU_DEP_1)
	v_fmac_f32_e32 v72, v2, v63
	v_pk_add_f32 v[74:75], v[0:1], v[2:3]
	v_dual_fmac_f32 v72, v76, v0 :: v_dual_mov_b32 v5, v75
	s_delay_alu instid0(VALU_DEP_1) | instskip(SKIP_1) | instid1(VALU_DEP_2)
	v_pk_add_f32 v[2:3], v[4:5], v[72:73]
	v_subrev_co_ci_u32_e64 v1, null, 0, v77, vcc_lo
	v_dual_mov_b32 v74, v3 :: v_dual_sub_f32 v5, v73, v3
	s_delay_alu instid0(VALU_DEP_3) | instskip(NEXT) | instid1(VALU_DEP_3)
	v_sub_f32_e32 v73, v2, v4
	v_cvt_f32_i32_e32 v1, v1
	s_delay_alu instid0(VALU_DEP_3) | instskip(NEXT) | instid1(VALU_DEP_4)
	v_pk_mul_f32 v[76:77], v[2:3], v[74:75]
	v_add_f32_e32 v5, v75, v5
	s_delay_alu instid0(VALU_DEP_4) | instskip(NEXT) | instid1(VALU_DEP_4)
	v_sub_f32_e32 v72, v72, v73
	v_mul_f32_e32 v74, 0x3f317218, v1
	s_delay_alu instid0(VALU_DEP_4) | instskip(NEXT) | instid1(VALU_DEP_1)
	v_fma_f32 v4, v2, v3, -v76
	v_fmac_f32_e32 v4, v2, v5
	s_delay_alu instid0(VALU_DEP_3) | instskip(NEXT) | instid1(VALU_DEP_2)
	v_fma_f32 v2, 0x3f317218, v1, -v74
	v_fmac_f32_e32 v4, v72, v3
	s_delay_alu instid0(VALU_DEP_2) | instskip(SKIP_1) | instid1(VALU_DEP_1)
	v_fmac_f32_e32 v2, 0xb102e308, v1
	v_ldexp_f32 v3, v0, 1
	v_dual_add_f32 v75, v76, v4 :: v_dual_mov_b32 v77, v3
	s_delay_alu instid0(VALU_DEP_1) | instskip(SKIP_2) | instid1(VALU_DEP_3)
	v_pk_add_f32 v[0:1], v[74:75], v[2:3]
	v_dual_mov_b32 v72, v75 :: v_dual_mov_b32 v5, v75
	v_ldexp_f32 v3, v63, 1
	v_mov_b32_e32 v73, v1
	s_delay_alu instid0(VALU_DEP_1) | instskip(NEXT) | instid1(VALU_DEP_1)
	v_pk_add_f32 v[72:73], v[72:73], v[76:77] neg_lo:[0,1] neg_hi:[0,1]
	v_pk_add_f32 v[4:5], v[4:5], v[72:73] neg_lo:[0,1] neg_hi:[0,1]
	s_delay_alu instid0(VALU_DEP_1) | instskip(NEXT) | instid1(VALU_DEP_1)
	v_add_f32_e32 v3, v3, v4
	v_dual_add_f32 v75, v3, v5 :: v_dual_mov_b32 v3, v0
	s_delay_alu instid0(VALU_DEP_1) | instskip(SKIP_1) | instid1(VALU_DEP_2)
	v_pk_add_f32 v[4:5], v[0:1], v[74:75]
	v_pk_add_f32 v[72:73], v[0:1], v[74:75] neg_lo:[0,1] neg_hi:[0,1]
	v_dual_mov_b32 v88, v1 :: v_dual_mov_b32 v73, v5
	s_delay_alu instid0(VALU_DEP_1) | instskip(SKIP_2) | instid1(VALU_DEP_3)
	v_pk_add_f32 v[76:77], v[2:3], v[72:73]
	v_mov_b32_e32 v76, v5
	v_pk_add_f32 v[2:3], v[2:3], v[72:73] neg_lo:[0,1] neg_hi:[0,1]
	v_mov_b32_e32 v74, v77
	s_delay_alu instid0(VALU_DEP_1) | instskip(SKIP_1) | instid1(VALU_DEP_2)
	v_pk_add_f32 v[78:79], v[74:75], v[0:1] neg_lo:[0,1] neg_hi:[0,1]
	v_dual_mov_b32 v1, v0 :: v_dual_mov_b32 v0, v75
	v_dual_mov_b32 v63, v78 :: v_dual_mov_b32 v89, v78
	s_delay_alu instid0(VALU_DEP_1) | instskip(NEXT) | instid1(VALU_DEP_2)
	v_pk_add_f32 v[4:5], v[4:5], v[62:63] neg_lo:[0,1] neg_hi:[0,1]
	v_pk_add_f32 v[72:73], v[76:77], v[88:89] neg_lo:[0,1] neg_hi:[0,1]
	v_mov_b32_e32 v4, v2
	s_delay_alu instid0(VALU_DEP_2) | instskip(NEXT) | instid1(VALU_DEP_1)
	v_pk_add_f32 v[0:1], v[0:1], v[72:73] neg_lo:[0,1] neg_hi:[0,1]
	v_pk_add_f32 v[4:5], v[4:5], v[0:1]
	s_delay_alu instid0(VALU_DEP_1) | instskip(NEXT) | instid1(VALU_DEP_1)
	v_mov_b32_e32 v72, v5
	v_pk_add_f32 v[72:73], v[4:5], v[72:73]
	s_delay_alu instid0(VALU_DEP_1) | instskip(SKIP_1) | instid1(VALU_DEP_2)
	v_pk_add_f32 v[74:75], v[74:75], v[72:73]
	v_dual_mov_b32 v3, v77 :: v_dual_sub_nc_u32 v75, 0, v59
	v_mov_b32_e32 v5, v74
	s_delay_alu instid0(VALU_DEP_1) | instskip(NEXT) | instid1(VALU_DEP_1)
	v_pk_add_f32 v[76:77], v[4:5], v[2:3] neg_lo:[0,1] neg_hi:[0,1]
	v_sub_f32_e32 v3, v4, v76
	s_delay_alu instid0(VALU_DEP_1) | instskip(SKIP_1) | instid1(VALU_DEP_2)
	v_dual_mov_b32 v1, v72 :: v_dual_sub_f32 v2, v2, v3
	v_mul_lo_u32 v3, v60, s72
	v_pk_add_f32 v[0:1], v[0:1], v[76:77] neg_lo:[0,1] neg_hi:[0,1]
	s_delay_alu instid0(VALU_DEP_1) | instskip(NEXT) | instid1(VALU_DEP_1)
	v_add_f32_e32 v0, v0, v2
	v_dual_add_f32 v0, v0, v1 :: v_dual_sub_nc_u32 v1, 0, v3
	s_delay_alu instid0(VALU_DEP_1) | instskip(SKIP_1) | instid1(VALU_DEP_2)
	v_dual_add_f32 v2, v74, v0 :: v_dual_max_i32 v1, v3, v1
	v_xor_b32_e32 v3, v59, v3
	v_cvt_f32_u32_e32 v60, v1
	s_delay_alu instid0(VALU_DEP_3) | instskip(NEXT) | instid1(VALU_DEP_1)
	v_sub_f32_e32 v4, v2, v74
	v_sub_f32_e32 v0, v0, v4
	s_delay_alu instid0(VALU_DEP_3) | instskip(SKIP_1) | instid1(VALU_DEP_1)
	v_rcp_iflag_f32_e32 v4, v60
	v_dual_mul_f32 v5, v62, v2 :: v_dual_sub_nc_u32 v60, 0, v1
	v_fma_f32 v2, v62, v2, -v5
	s_delay_alu instid0(VALU_DEP_1) | instskip(SKIP_1) | instid1(TRANS32_DEP_1)
	v_fmac_f32_e32 v2, v62, v0
	v_cmp_class_f32_e64 vcc_lo, v5, 0x204
	v_mul_f32_e32 v0, 0x4f7ffffe, v4
	s_delay_alu instid0(VALU_DEP_3) | instskip(NEXT) | instid1(VALU_DEP_1)
	v_add_f32_e32 v4, v5, v2
	v_cndmask_b32_e32 v63, v4, v5, vcc_lo
	s_delay_alu instid0(VALU_DEP_3) | instskip(NEXT) | instid1(VALU_DEP_2)
	v_cvt_u32_f32_e32 v0, v0
	v_cmp_eq_f32_e32 vcc_lo, 0x42b17218, v63
	s_delay_alu instid0(VALU_DEP_2) | instskip(SKIP_3) | instid1(VALU_DEP_2)
	v_mul_lo_u32 v60, v60, v0
	v_cmp_neq_f32_e64 s62, 0x7f800000, |v63|
	v_cndmask_b32_e64 v72, 0, 0x37000000, vcc_lo
	v_cmp_gt_f32_e32 vcc_lo, 0, v62
	v_dual_sub_f32 v73, v63, v72 :: v_dual_sub_f32 v4, v4, v5
	v_mul_hi_u32 v60, v0, v60
	s_delay_alu instid0(VALU_DEP_2) | instskip(NEXT) | instid1(VALU_DEP_1)
	v_dual_mul_f32 v74, 0x3fb8aa3b, v73 :: v_dual_max_i32 v75, v59, v75
	v_fma_f32 v76, 0x3fb8aa3b, v73, -v74
	v_rndne_f32_e32 v77, v74
	s_delay_alu instid0(VALU_DEP_1) | instskip(SKIP_1) | instid1(VALU_DEP_2)
	v_dual_add_nc_u32 v0, v0, v60 :: v_dual_sub_f32 v60, v74, v77
	v_cvt_i32_f32_e32 v59, v77
	v_mul_hi_u32 v0, v75, v0
	v_fmac_f32_e32 v76, 0x32a5705f, v73
	v_trunc_f32_e32 v74, v62
	s_delay_alu instid0(VALU_DEP_2) | instskip(SKIP_1) | instid1(VALU_DEP_2)
	v_dual_add_f32 v60, v60, v76 :: v_dual_mul_f32 v76, 0.5, v62
	s_wait_xcnt 0x0
	v_cmp_eq_f32_e64 s60, v74, v62
	s_delay_alu instid0(VALU_DEP_2) | instskip(SKIP_2) | instid1(TRANS32_DEP_1)
	v_exp_f32_e32 v5, v60
	v_nop
	v_mul_lo_u32 v60, v0, v1
	v_ldexp_f32 v5, v5, v59
	v_sub_f32_e32 v2, v2, v4
	v_trunc_f32_e32 v4, v76
	s_delay_alu instid0(VALU_DEP_2) | instskip(SKIP_1) | instid1(VALU_DEP_2)
	v_dual_add_nc_u32 v59, 1, v0 :: v_dual_cndmask_b32 v2, 0, v2, s62
	v_cmp_ngt_f32_e64 s62, 0xc2ce8ed0, v73
	v_dual_sub_nc_u32 v60, v75, v60 :: v_dual_add_f32 v2, v72, v2
	s_delay_alu instid0(VALU_DEP_2) | instskip(SKIP_1) | instid1(VALU_DEP_3)
	v_cndmask_b32_e64 v5, 0, v5, s62
	v_cmp_nlt_f32_e64 s62, 0x42b17218, v73
	v_cmp_ge_u32_e64 s63, v60, v1
	s_delay_alu instid0(VALU_DEP_2) | instskip(SKIP_1) | instid1(VALU_DEP_2)
	v_cndmask_b32_e64 v5, 0x7f800000, v5, s62
	v_cmp_neq_f32_e64 s62, v4, v76
	v_dual_ashrrev_i32 v3, 31, v3 :: v_dual_fma_f32 v2, v5, v2, v5
	s_and_b32 s62, s60, s62
	s_delay_alu instid0(SALU_CYCLE_1) | instskip(SKIP_2) | instid1(VALU_DEP_1)
	v_dual_cndmask_b32 v0, v0, v59, s63 :: v_dual_cndmask_b32 v59, 1.0, v61, s62
	v_sub_nc_u32_e32 v4, v60, v1
	v_cmp_class_f32_e64 s72, v5, 0x204
	v_dual_cndmask_b32 v2, v2, v5, s72 :: v_dual_add_nc_u32 v5, 1, v0
	s_delay_alu instid0(VALU_DEP_3) | instskip(SKIP_1) | instid1(VALU_DEP_2)
	v_cndmask_b32_e64 v4, v60, v4, s63
	s_xor_b32 s63, vcc_lo, s61
	v_bfi_b32 v2, 0x7fffffff, v2, v59
	v_cndmask_b32_e64 v60, 0x7f800000, 0, s63
	s_delay_alu instid0(VALU_DEP_3) | instskip(NEXT) | instid1(VALU_DEP_3)
	v_cmp_ge_u32_e32 vcc_lo, v4, v1
	v_cndmask_b32_e64 v1, 0x7fc00000, v2, s60
	v_cmp_class_f32_e64 s60, v61, 0x204
	v_cndmask_b32_e32 v0, v0, v5, vcc_lo
	v_cndmask_b32_e64 v59, 0, v61, s62
	v_cmp_gt_f32_e32 vcc_lo, 0, v61
	s_delay_alu instid0(VALU_DEP_3) | instskip(NEXT) | instid1(VALU_DEP_3)
	v_xor_b32_e32 v0, v0, v3
	v_bfi_b32 v4, 0x7fffffff, v60, v59
	v_cndmask_b32_e32 v1, v2, v1, vcc_lo
	s_or_b32 vcc_lo, s61, s60
	s_add_co_i32 s60, s34, 1
	s_delay_alu instid0(VALU_DEP_1) | instskip(SKIP_1) | instid1(VALU_DEP_2)
	v_dual_cndmask_b32 v1, v1, v4 :: v_dual_sub_nc_u32 v0, v0, v3
	v_cmp_o_f32_e32 vcc_lo, v61, v61
	v_cvt_f32_i32_e32 v0, v0
	s_delay_alu instid0(VALU_DEP_3) | instskip(SKIP_2) | instid1(VALU_DEP_2)
	v_cndmask_b32_e32 v1, 0x7fc00000, v1, vcc_lo
	v_cmp_eq_u32_e32 vcc_lo, s34, v24
	s_mov_b32 s34, s60
	v_mul_f32_e32 v0, v1, v0
	s_or_b32 s30, vcc_lo, s30
	s_wait_loadcnt 0x0
	s_delay_alu instid0(VALU_DEP_1)
	v_fmac_f32_e32 v47, v90, v0
	s_and_not1_b32 exec_lo, exec_lo, s30
	s_cbranch_execz .LBB0_278
.LBB0_252:                              ;   Parent Loop BB0_225 Depth=1
                                        ;     Parent Loop BB0_245 Depth=2
                                        ; =>    This Loop Header: Depth=3
                                        ;         Child Loop BB0_255 Depth 4
                                        ;         Child Loop BB0_259 Depth 4
                                        ;         Child Loop BB0_265 Depth 4
                                        ;         Child Loop BB0_269 Depth 4
                                        ;         Child Loop BB0_273 Depth 4
                                        ;         Child Loop BB0_277 Depth 4
	v_mov_b32_e32 v59, 1
	s_and_saveexec_b32 s72, s2
	s_cbranch_execz .LBB0_262
; %bb.253:                              ;   in Loop: Header=BB0_252 Depth=3
	v_dual_mov_b32 v0, 2 :: v_dual_mov_b32 v59, 1
	s_mov_b32 s61, -1
	s_and_saveexec_b32 s35, s40
	s_cbranch_execz .LBB0_257
; %bb.254:                              ;   in Loop: Header=BB0_252 Depth=3
	v_mov_b32_e32 v4, v84
	s_mov_b32 s60, 1
	s_mov_b32 s36, 3
	;; [unrolled: 1-line block ×7, first 2 shown]
.LBB0_255:                              ;   Parent Loop BB0_225 Depth=1
                                        ;     Parent Loop BB0_245 Depth=2
                                        ;       Parent Loop BB0_252 Depth=3
                                        ; =>      This Inner Loop Header: Depth=4
	v_add_nc_u32_e32 v4, -4, v4
	s_add_co_i32 s39, s38, 2
	s_add_co_i32 vcc_lo, s36, 2
	s_mul_i32 s61, s61, s36
	s_mul_i32 s60, s60, s38
	s_mul_i32 s63, s63, vcc_lo
	s_mul_i32 s62, s62, s39
	v_cmp_eq_u32_e32 vcc_lo, 0, v4
	v_mov_b64_e32 v[0:1], s[60:61]
	v_mov_b64_e32 v[2:3], s[62:63]
	s_add_co_i32 s38, s38, 4
	s_add_co_i32 s36, s36, 4
	s_or_b32 s37, vcc_lo, s37
	s_delay_alu instid0(SALU_CYCLE_1)
	s_and_not1_b32 exec_lo, exec_lo, s37
	s_cbranch_execnz .LBB0_255
; %bb.256:                              ;   in Loop: Header=BB0_252 Depth=3
	s_or_b32 exec_lo, exec_lo, s37
	v_mul_lo_u32 v1, v3, v1
	v_mul_lo_u32 v0, v2, v0
	s_or_not1_b32 s61, s41, exec_lo
	s_delay_alu instid0(VALU_DEP_1)
	v_mul_lo_u32 v59, v0, v1
	v_mov_b32_e32 v0, v96
.LBB0_257:                              ;   in Loop: Header=BB0_252 Depth=3
	s_or_b32 exec_lo, exec_lo, s35
	s_and_saveexec_b32 s60, s61
	s_cbranch_execz .LBB0_261
; %bb.258:                              ;   in Loop: Header=BB0_252 Depth=3
	s_mov_b32 s61, 0
.LBB0_259:                              ;   Parent Loop BB0_225 Depth=1
                                        ;     Parent Loop BB0_245 Depth=2
                                        ;       Parent Loop BB0_252 Depth=3
                                        ; =>      This Inner Loop Header: Depth=4
	s_delay_alu instid0(VALU_DEP_1) | instskip(SKIP_1) | instid1(VALU_DEP_1)
	v_mul_lo_u32 v59, v59, v0
	v_add_nc_u32_e32 v0, 1, v0
	v_cmp_eq_u32_e32 vcc_lo, v114, v0
	s_or_b32 s61, vcc_lo, s61
	s_delay_alu instid0(SALU_CYCLE_1)
	s_and_not1_b32 exec_lo, exec_lo, s61
	s_cbranch_execnz .LBB0_259
; %bb.260:                              ;   in Loop: Header=BB0_252 Depth=3
	s_or_b32 exec_lo, exec_lo, s61
.LBB0_261:                              ;   in Loop: Header=BB0_252 Depth=3
	s_delay_alu instid0(SALU_CYCLE_1)
	s_or_b32 exec_lo, exec_lo, s60
.LBB0_262:                              ;   in Loop: Header=BB0_252 Depth=3
	s_delay_alu instid0(SALU_CYCLE_1)
	s_or_b32 exec_lo, exec_lo, s72
	s_cmp_lt_u32 s34, 2
	s_mov_b32 s72, 1
	s_cbranch_scc1 .LBB0_270
; %bb.263:                              ;   in Loop: Header=BB0_252 Depth=3
	s_cmp_lt_u32 s34, 5
	s_cbranch_scc1 .LBB0_267
; %bb.264:                              ;   in Loop: Header=BB0_252 Depth=3
	s_and_b32 s61, s31, -4
	s_mov_b32 s60, 1
	s_mov_b32 s62, 3
	;; [unrolled: 1-line block ×3, first 2 shown]
	s_mov_b32 vcc_lo, 1
	s_mov_b32 s63, 1
	s_mov_b32 s35, 1
.LBB0_265:                              ;   Parent Loop BB0_225 Depth=1
                                        ;     Parent Loop BB0_245 Depth=2
                                        ;       Parent Loop BB0_252 Depth=3
                                        ; =>      This Inner Loop Header: Depth=4
	s_add_co_i32 s36, s72, 2
	s_add_co_i32 s37, s62, 2
	s_add_co_i32 s61, s61, -4
	s_mul_i32 vcc_lo, vcc_lo, s62
	s_mul_i32 s60, s60, s72
	s_add_co_i32 s72, s72, 4
	s_add_co_i32 s62, s62, 4
	s_mul_i32 s35, s35, s37
	s_cmp_lg_u32 s61, 0
	s_mul_i32 s63, s63, s36
	s_cbranch_scc1 .LBB0_265
; %bb.266:                              ;   in Loop: Header=BB0_252 Depth=3
	s_add_co_i32 s62, s34, -1
	s_mul_i32 vcc_lo, s35, vcc_lo
	s_and_b32 s72, s62, -4
	s_mul_i32 s60, s63, s60
	s_or_b32 s61, s72, 2
	s_cmp_lg_u32 s62, s72
	s_mul_i32 s72, s60, vcc_lo
	s_cselect_b32 s60, -1, 0
	s_delay_alu instid0(SALU_CYCLE_1)
	s_and_b32 vcc_lo, exec_lo, s60
	s_cbranch_vccnz .LBB0_268
	s_branch .LBB0_270
.LBB0_267:                              ;   in Loop: Header=BB0_252 Depth=3
	s_mov_b32 s61, 2
	s_cbranch_execz .LBB0_270
.LBB0_268:                              ;   in Loop: Header=BB0_252 Depth=3
	s_add_co_i32 s60, s34, 1
.LBB0_269:                              ;   Parent Loop BB0_225 Depth=1
                                        ;     Parent Loop BB0_245 Depth=2
                                        ;       Parent Loop BB0_252 Depth=3
                                        ; =>      This Inner Loop Header: Depth=4
	s_mul_i32 s72, s72, s61
	s_add_co_i32 s61, s61, 1
	s_delay_alu instid0(SALU_CYCLE_1)
	s_cmp_lg_u32 s60, s61
	s_cbranch_scc1 .LBB0_269
.LBB0_270:                              ;   in Loop: Header=BB0_252 Depth=3
	v_subrev_nc_u32_e32 v4, s34, v24
	v_mov_b32_e32 v60, 1
	s_mov_b32 s35, exec_lo
	s_delay_alu instid0(VALU_DEP_2)
	v_cmpx_lt_i32_e32 1, v4
	s_cbranch_execz .LBB0_251
; %bb.271:                              ;   in Loop: Header=BB0_252 Depth=3
	v_subrev_nc_u32_e32 v5, s34, v35
	v_dual_mov_b32 v0, 2 :: v_dual_mov_b32 v60, 1
	s_mov_b32 s61, -1
	s_mov_b32 s36, exec_lo
	s_delay_alu instid0(VALU_DEP_2)
	v_cmpx_lt_u32_e32 3, v5
	s_cbranch_execz .LBB0_275
; %bb.272:                              ;   in Loop: Header=BB0_252 Depth=3
	v_and_b32_e32 v60, -4, v58
	s_mov_b32 s60, 1
	s_mov_b32 s37, 3
	;; [unrolled: 1-line block ×7, first 2 shown]
.LBB0_273:                              ;   Parent Loop BB0_225 Depth=1
                                        ;     Parent Loop BB0_245 Depth=2
                                        ;       Parent Loop BB0_252 Depth=3
                                        ; =>      This Inner Loop Header: Depth=4
	v_add_nc_u32_e32 v60, -4, v60
	s_add_co_i32 s48, s39, 2
	s_add_co_i32 vcc_lo, s37, 2
	s_mul_i32 s61, s61, s37
	s_mul_i32 s60, s60, s39
	s_mul_i32 s63, s63, vcc_lo
	s_mul_i32 s62, s62, s48
	v_cmp_eq_u32_e32 vcc_lo, 0, v60
	v_mov_b64_e32 v[0:1], s[60:61]
	v_mov_b64_e32 v[2:3], s[62:63]
	s_add_co_i32 s39, s39, 4
	s_add_co_i32 s37, s37, 4
	s_or_b32 s38, vcc_lo, s38
	s_delay_alu instid0(SALU_CYCLE_1)
	s_and_not1_b32 exec_lo, exec_lo, s38
	s_cbranch_execnz .LBB0_273
; %bb.274:                              ;   in Loop: Header=BB0_252 Depth=3
	s_or_b32 exec_lo, exec_lo, s38
	v_mul_lo_u32 v1, v3, v1
	v_mul_lo_u32 v0, v2, v0
	v_and_b32_e32 v2, -4, v5
	s_delay_alu instid0(VALU_DEP_1) | instskip(SKIP_1) | instid1(VALU_DEP_3)
	v_cmp_ne_u32_e32 vcc_lo, v5, v2
	s_or_not1_b32 s61, vcc_lo, exec_lo
	v_mul_lo_u32 v60, v0, v1
	v_or_b32_e32 v0, 2, v2
.LBB0_275:                              ;   in Loop: Header=BB0_252 Depth=3
	s_or_b32 exec_lo, exec_lo, s36
	s_and_saveexec_b32 s60, s61
	s_cbranch_execz .LBB0_250
; %bb.276:                              ;   in Loop: Header=BB0_252 Depth=3
	s_mov_b32 s61, 0
.LBB0_277:                              ;   Parent Loop BB0_225 Depth=1
                                        ;     Parent Loop BB0_245 Depth=2
                                        ;       Parent Loop BB0_252 Depth=3
                                        ; =>      This Inner Loop Header: Depth=4
	s_delay_alu instid0(VALU_DEP_2) | instskip(SKIP_1) | instid1(VALU_DEP_1)
	v_mul_lo_u32 v60, v60, v0
	v_add_nc_u32_e32 v0, 1, v0
	v_cmp_eq_u32_e32 vcc_lo, v57, v0
	s_or_b32 s61, vcc_lo, s61
	s_delay_alu instid0(SALU_CYCLE_1)
	s_and_not1_b32 exec_lo, exec_lo, s61
	s_cbranch_execnz .LBB0_277
	s_branch .LBB0_249
.LBB0_278:                              ;   in Loop: Header=BB0_245 Depth=2
	s_or_b32 exec_lo, exec_lo, s30
	s_delay_alu instid0(SALU_CYCLE_1)
	s_or_b32 exec_lo, exec_lo, vcc_hi
	v_mov_b32_e32 v4, 1
	s_and_saveexec_b32 s72, s8
	s_cbranch_execz .LBB0_247
.LBB0_279:                              ;   in Loop: Header=BB0_245 Depth=2
	v_dual_mov_b32 v0, 2 :: v_dual_mov_b32 v4, 1
	s_mov_b32 s61, -1
	s_and_saveexec_b32 vcc_hi, s42
	s_cbranch_execz .LBB0_283
; %bb.280:                              ;   in Loop: Header=BB0_245 Depth=2
	v_mov_b32_e32 v4, v87
	s_mov_b32 s60, 1
	s_mov_b32 s30, 3
	;; [unrolled: 1-line block ×7, first 2 shown]
.LBB0_281:                              ;   Parent Loop BB0_225 Depth=1
                                        ;     Parent Loop BB0_245 Depth=2
                                        ; =>    This Inner Loop Header: Depth=3
	v_add_nc_u32_e32 v4, -4, v4
	s_add_co_i32 s35, s34, 2
	s_add_co_i32 vcc_lo, s30, 2
	s_mul_i32 s61, s61, s30
	s_mul_i32 s60, s60, s34
	s_mul_i32 s63, s63, vcc_lo
	s_mul_i32 s62, s62, s35
	v_cmp_eq_u32_e32 vcc_lo, 0, v4
	v_mov_b64_e32 v[0:1], s[60:61]
	v_mov_b64_e32 v[2:3], s[62:63]
	s_add_co_i32 s34, s34, 4
	s_add_co_i32 s30, s30, 4
	s_or_b32 s31, vcc_lo, s31
	s_delay_alu instid0(SALU_CYCLE_1)
	s_and_not1_b32 exec_lo, exec_lo, s31
	s_cbranch_execnz .LBB0_281
; %bb.282:                              ;   in Loop: Header=BB0_245 Depth=2
	s_or_b32 exec_lo, exec_lo, s31
	v_mul_lo_u32 v1, v3, v1
	v_mul_lo_u32 v0, v2, v0
	s_or_not1_b32 s61, s43, exec_lo
	s_delay_alu instid0(VALU_DEP_1)
	v_mul_lo_u32 v4, v0, v1
	v_mov_b32_e32 v0, v98
.LBB0_283:                              ;   in Loop: Header=BB0_245 Depth=2
	s_or_b32 exec_lo, exec_lo, vcc_hi
	s_and_saveexec_b32 s60, s61
	s_cbranch_execz .LBB0_287
; %bb.284:                              ;   in Loop: Header=BB0_245 Depth=2
	s_mov_b32 s61, 0
.LBB0_285:                              ;   Parent Loop BB0_225 Depth=1
                                        ;     Parent Loop BB0_245 Depth=2
                                        ; =>    This Inner Loop Header: Depth=3
	s_delay_alu instid0(VALU_DEP_1) | instskip(SKIP_1) | instid1(VALU_DEP_1)
	v_mul_lo_u32 v4, v4, v0
	v_add_nc_u32_e32 v0, 1, v0
	v_cmp_eq_u32_e32 vcc_lo, v115, v0
	s_or_b32 s61, vcc_lo, s61
	s_delay_alu instid0(SALU_CYCLE_1)
	s_and_not1_b32 exec_lo, exec_lo, s61
	s_cbranch_execnz .LBB0_285
; %bb.286:                              ;   in Loop: Header=BB0_245 Depth=2
	s_or_b32 exec_lo, exec_lo, s61
.LBB0_287:                              ;   in Loop: Header=BB0_245 Depth=2
	s_delay_alu instid0(SALU_CYCLE_1) | instskip(NEXT) | instid1(SALU_CYCLE_1)
	s_or_b32 exec_lo, exec_lo, s60
	s_or_b32 exec_lo, exec_lo, s72
	s_cmp_lt_u32 s95, 2
	s_mov_b32 s72, 1
	s_cbranch_scc1 .LBB0_295
.LBB0_288:                              ;   in Loop: Header=BB0_245 Depth=2
	s_cmp_lt_u32 s95, 5
	s_cbranch_scc1 .LBB0_292
; %bb.289:                              ;   in Loop: Header=BB0_245 Depth=2
	s_and_b32 s61, s94, -4
	s_mov_b32 s60, 1
	s_mov_b32 s62, 3
	s_mov_b32 s72, 2
	s_mov_b32 vcc_lo, 1
	s_mov_b32 s63, 1
	s_mov_b32 vcc_hi, 1
.LBB0_290:                              ;   Parent Loop BB0_225 Depth=1
                                        ;     Parent Loop BB0_245 Depth=2
                                        ; =>    This Inner Loop Header: Depth=3
	s_add_co_i32 s30, s72, 2
	s_add_co_i32 s31, s62, 2
	s_add_co_i32 s61, s61, -4
	s_mul_i32 vcc_lo, vcc_lo, s62
	s_mul_i32 s60, s60, s72
	s_add_co_i32 s72, s72, 4
	s_add_co_i32 s62, s62, 4
	s_mul_i32 vcc_hi, vcc_hi, s31
	s_cmp_lg_u32 s61, 0
	s_mul_i32 s63, s63, s30
	s_cbranch_scc1 .LBB0_290
; %bb.291:                              ;   in Loop: Header=BB0_245 Depth=2
	s_add_co_i32 s62, s95, -1
	s_mul_i32 vcc_lo, vcc_hi, vcc_lo
	s_and_b32 s72, s62, -4
	s_mul_i32 s60, s63, s60
	s_or_b32 s61, s72, 2
	s_cmp_lg_u32 s62, s72
	s_mul_i32 s72, s60, vcc_lo
	s_cselect_b32 s60, -1, 0
	s_delay_alu instid0(SALU_CYCLE_1)
	s_and_b32 vcc_lo, exec_lo, s60
	s_cbranch_vccnz .LBB0_293
	s_branch .LBB0_295
.LBB0_292:                              ;   in Loop: Header=BB0_245 Depth=2
	s_mov_b32 s61, 2
	s_cbranch_execz .LBB0_295
.LBB0_293:                              ;   in Loop: Header=BB0_245 Depth=2
	s_add_co_i32 s60, s95, 1
.LBB0_294:                              ;   Parent Loop BB0_225 Depth=1
                                        ;     Parent Loop BB0_245 Depth=2
                                        ; =>    This Inner Loop Header: Depth=3
	s_mul_i32 s72, s72, s61
	s_add_co_i32 s61, s61, 1
	s_delay_alu instid0(SALU_CYCLE_1)
	s_cmp_lg_u32 s60, s61
	s_cbranch_scc1 .LBB0_294
.LBB0_295:                              ;   in Loop: Header=BB0_245 Depth=2
	v_subrev_nc_u32_e32 v5, s95, v27
	v_mov_b32_e32 v1, 1
	s_mov_b32 vcc_hi, exec_lo
	s_delay_alu instid0(VALU_DEP_2)
	v_cmpx_lt_i32_e32 1, v5
	s_cbranch_execz .LBB0_244
; %bb.296:                              ;   in Loop: Header=BB0_245 Depth=2
	v_subrev_nc_u32_e32 v56, s95, v83
	v_dual_mov_b32 v0, 2 :: v_dual_mov_b32 v1, 1
	s_mov_b32 s61, -1
	s_mov_b32 s30, exec_lo
	s_delay_alu instid0(VALU_DEP_2)
	v_cmpx_lt_u32_e32 3, v56
	s_cbranch_execz .LBB0_300
; %bb.297:                              ;   in Loop: Header=BB0_245 Depth=2
	v_and_b32_e32 v57, -4, v46
	s_mov_b32 s60, 1
	s_mov_b32 s31, 3
	;; [unrolled: 1-line block ×7, first 2 shown]
.LBB0_298:                              ;   Parent Loop BB0_225 Depth=1
                                        ;     Parent Loop BB0_245 Depth=2
                                        ; =>    This Inner Loop Header: Depth=3
	v_add_nc_u32_e32 v57, -4, v57
	s_add_co_i32 s36, s35, 2
	s_add_co_i32 vcc_lo, s31, 2
	s_mul_i32 s61, s61, s31
	s_mul_i32 s60, s60, s35
	s_mul_i32 s63, s63, vcc_lo
	s_mul_i32 s62, s62, s36
	v_cmp_eq_u32_e32 vcc_lo, 0, v57
	v_mov_b64_e32 v[0:1], s[60:61]
	v_mov_b64_e32 v[2:3], s[62:63]
	s_add_co_i32 s35, s35, 4
	s_add_co_i32 s31, s31, 4
	s_or_b32 s34, vcc_lo, s34
	s_delay_alu instid0(SALU_CYCLE_1)
	s_and_not1_b32 exec_lo, exec_lo, s34
	s_cbranch_execnz .LBB0_298
; %bb.299:                              ;   in Loop: Header=BB0_245 Depth=2
	s_or_b32 exec_lo, exec_lo, s34
	v_mul_lo_u32 v1, v3, v1
	v_mul_lo_u32 v0, v2, v0
	v_and_b32_e32 v2, -4, v56
	s_delay_alu instid0(VALU_DEP_1) | instskip(SKIP_1) | instid1(VALU_DEP_3)
	v_cmp_ne_u32_e32 vcc_lo, v56, v2
	s_or_not1_b32 s61, vcc_lo, exec_lo
	v_mul_lo_u32 v1, v0, v1
	v_or_b32_e32 v0, 2, v2
.LBB0_300:                              ;   in Loop: Header=BB0_245 Depth=2
	s_or_b32 exec_lo, exec_lo, s30
	s_and_saveexec_b32 s60, s61
	s_cbranch_execz .LBB0_243
; %bb.301:                              ;   in Loop: Header=BB0_245 Depth=2
	s_mov_b32 s61, 0
.LBB0_302:                              ;   Parent Loop BB0_225 Depth=1
                                        ;     Parent Loop BB0_245 Depth=2
                                        ; =>    This Inner Loop Header: Depth=3
	s_delay_alu instid0(VALU_DEP_2) | instskip(SKIP_1) | instid1(VALU_DEP_1)
	v_mul_lo_u32 v1, v1, v0
	v_add_nc_u32_e32 v0, 1, v0
	v_cmp_eq_u32_e32 vcc_lo, v45, v0
	s_or_b32 s61, vcc_lo, s61
	s_delay_alu instid0(SALU_CYCLE_1)
	s_and_not1_b32 exec_lo, exec_lo, s61
	s_cbranch_execnz .LBB0_302
; %bb.303:                              ;   in Loop: Header=BB0_245 Depth=2
	s_or_b32 exec_lo, exec_lo, s61
	s_branch .LBB0_243
.LBB0_304:                              ;   in Loop: Header=BB0_225 Depth=1
	s_or_b32 exec_lo, exec_lo, s93
.LBB0_305:                              ;   in Loop: Header=BB0_225 Depth=1
	s_delay_alu instid0(SALU_CYCLE_1) | instskip(SKIP_4) | instid1(VALU_DEP_1)
	s_or_b32 exec_lo, exec_lo, s92
	v_dual_mul_f32 v0, v69, v44 :: v_dual_mul_f32 v2, v70, v41
	scratch_store_b32 off, v80, s32 offset:176
	v_cvt_f64_f32_e32 v[0:1], v0
	v_cvt_f64_f32_e32 v[2:3], v2
	v_fmac_f64_e32 v[0:1], 2.0, v[2:3]
	s_delay_alu instid0(VALU_DEP_1)
	v_cvt_f32_f64_e32 v0, v[0:1]
	s_wait_xcnt 0x0
	s_and_saveexec_b32 s60, s10
	s_cbranch_execz .LBB0_307
; %bb.306:                              ;   in Loop: Header=BB0_225 Depth=1
	s_delay_alu instid0(VALU_DEP_1)
	v_mul_f32_e32 v1, v80, v0
	scratch_store_b32 off, v1, s32 offset:204
.LBB0_307:                              ;   in Loop: Header=BB0_225 Depth=1
	s_wait_xcnt 0x0
	s_or_b32 exec_lo, exec_lo, s60
	v_dual_mul_f32 v1, v50, v44 :: v_dual_mul_f32 v4, v71, v41
	s_delay_alu instid0(VALU_DEP_1) | instskip(NEXT) | instid1(VALU_DEP_2)
	v_cvt_f64_f32_e32 v[2:3], v1
	v_cvt_f64_f32_e32 v[4:5], v4
	s_delay_alu instid0(VALU_DEP_1) | instskip(NEXT) | instid1(VALU_DEP_1)
	v_fmac_f64_e32 v[2:3], 2.0, v[4:5]
	v_cvt_f32_f64_e32 v2, v[2:3]
	s_and_saveexec_b32 s60, s11
	s_cbranch_execz .LBB0_309
; %bb.308:                              ;   in Loop: Header=BB0_225 Depth=1
	s_delay_alu instid0(VALU_DEP_1)
	v_mul_f32_e32 v1, v80, v2
	scratch_store_b32 off, v1, s32 offset:180
.LBB0_309:                              ;   in Loop: Header=BB0_225 Depth=1
	s_wait_xcnt 0x0
	s_or_b32 exec_lo, exec_lo, s60
	s_and_saveexec_b32 s60, s12
	s_cbranch_execz .LBB0_312
; %bb.310:                              ;   in Loop: Header=BB0_225 Depth=1
	scratch_load_b32 v1, off, s32 offset:204
	s_mov_b32 s61, 1
	s_mov_b32 s62, 0
	;; [unrolled: 1-line block ×3, first 2 shown]
.LBB0_311:                              ;   Parent Loop BB0_225 Depth=1
                                        ; =>  This Inner Loop Header: Depth=2
	scratch_load_b32 v3, off, s63 offset:-56
	s_cvt_f32_i32 s72, s61
	s_add_co_i32 s61, s61, 1
	s_delay_alu instid0(SALU_CYCLE_1) | instskip(NEXT) | instid1(SALU_CYCLE_1)
	v_cmp_eq_u32_e32 vcc_lo, s61, v52
	v_mul_f32_e32 v4, s72, v43
	s_wait_loadcnt 0x0
	s_delay_alu instid0(VALU_DEP_1) | instskip(NEXT) | instid1(VALU_DEP_1)
	v_mul_f32_e32 v3, v3, v4
	v_fmac_f32_e32 v3, v1, v0
	s_delay_alu instid0(VALU_DEP_1) | instskip(SKIP_4) | instid1(SALU_CYCLE_1)
	v_mov_b32_e32 v1, v3
	scratch_store_b32 off, v3, s63
	s_wait_xcnt 0x0
	s_add_co_i32 s63, s63, 28
	s_or_b32 s62, vcc_lo, s62
	s_and_not1_b32 exec_lo, exec_lo, s62
	s_cbranch_execnz .LBB0_311
.LBB0_312:                              ;   in Loop: Header=BB0_225 Depth=1
	s_or_b32 exec_lo, exec_lo, s60
	s_and_saveexec_b32 s60, s13
	s_cbranch_execz .LBB0_315
; %bb.313:                              ;   in Loop: Header=BB0_225 Depth=1
	scratch_load_b32 v0, off, s32 offset:180
	s_mov_b32 s61, 1
	s_mov_b32 s62, 0
	;; [unrolled: 1-line block ×3, first 2 shown]
.LBB0_314:                              ;   Parent Loop BB0_225 Depth=1
                                        ; =>  This Inner Loop Header: Depth=2
	scratch_load_b32 v1, off, s63 offset:-8
	s_cvt_f32_i32 s72, s61
	s_add_co_i32 s61, s61, 1
	s_delay_alu instid0(SALU_CYCLE_1) | instskip(NEXT) | instid1(SALU_CYCLE_1)
	v_cmp_eq_u32_e32 vcc_lo, s61, v49
	v_mul_f32_e32 v3, s72, v42
	s_wait_loadcnt 0x0
	s_delay_alu instid0(VALU_DEP_1) | instskip(NEXT) | instid1(VALU_DEP_1)
	v_mul_f32_e32 v1, v1, v3
	v_fmac_f32_e32 v1, v0, v2
	s_delay_alu instid0(VALU_DEP_1) | instskip(SKIP_4) | instid1(SALU_CYCLE_1)
	v_mov_b32_e32 v0, v1
	scratch_store_b32 off, v1, s63
	s_wait_xcnt 0x0
	s_add_co_i32 s63, s63, 4
	s_or_b32 s62, vcc_lo, s62
	s_and_not1_b32 exec_lo, exec_lo, s62
	s_cbranch_execnz .LBB0_314
.LBB0_315:                              ;   in Loop: Header=BB0_225 Depth=1
	s_or_b32 exec_lo, exec_lo, s60
	s_and_saveexec_b32 s60, s77
	s_cbranch_execz .LBB0_321
; %bb.316:                              ;   in Loop: Header=BB0_225 Depth=1
	s_mov_b32 s63, 1
	s_mov_b32 s61, 0
	;; [unrolled: 1-line block ×3, first 2 shown]
	s_branch .LBB0_318
.LBB0_317:                              ;   in Loop: Header=BB0_318 Depth=2
	s_or_b32 exec_lo, exec_lo, s72
	v_cmp_eq_u32_e32 vcc_lo, s63, v52
	s_add_co_i32 s63, s63, 1
	s_add_co_i32 s62, s62, 28
	s_or_b32 s61, vcc_lo, s61
	s_delay_alu instid0(SALU_CYCLE_1)
	s_and_not1_b32 exec_lo, exec_lo, s61
	s_cbranch_execz .LBB0_321
.LBB0_318:                              ;   Parent Loop BB0_225 Depth=1
                                        ; =>  This Loop Header: Depth=2
                                        ;       Child Loop BB0_320 Depth 3
	s_mul_i32 s72, s63, 28
	s_delay_alu instid0(SALU_CYCLE_1) | instskip(NEXT) | instid1(SALU_CYCLE_1)
	s_add_co_i32 s92, s32, s72
	s_add_co_i32 s72, s92, 0xb0
	s_cvt_f32_u32 s92, s63
	s_clause 0x1
	scratch_load_b32 v1, off, s72
	scratch_load_b32 v4, off, s72 offset:-28
	s_wait_loadcnt 0x1
	v_dual_mul_f32 v0, s92, v41 :: v_dual_mul_f32 v3, v1, v2
	s_wait_loadcnt 0x0
	s_delay_alu instid0(VALU_DEP_1)
	v_fmac_f32_e32 v3, v4, v0
	scratch_store_b32 off, v3, s72 offset:4
	s_wait_xcnt 0x0
	s_and_saveexec_b32 s72, s13
	s_cbranch_execz .LBB0_317
; %bb.319:                              ;   in Loop: Header=BB0_318 Depth=2
	s_mov_b32 s92, 1
	s_mov_b32 s93, 0
	s_mov_b32 s94, s62
.LBB0_320:                              ;   Parent Loop BB0_225 Depth=1
                                        ;     Parent Loop BB0_318 Depth=2
                                        ; =>    This Inner Loop Header: Depth=3
	s_clause 0x1
	scratch_load_b32 v5, off, s94
	scratch_load_b32 v4, off, s94 offset:-24
	s_cvt_f32_i32 s95, s92
	s_add_co_i32 s92, s92, 1
	s_delay_alu instid0(SALU_CYCLE_1) | instskip(NEXT) | instid1(SALU_CYCLE_1)
	v_cmp_eq_u32_e32 vcc_lo, s92, v49
	v_mul_f32_e32 v1, s95, v42
	s_wait_loadcnt 0x0
	s_delay_alu instid0(VALU_DEP_1) | instskip(NEXT) | instid1(VALU_DEP_1)
	v_pk_mul_f32 v[4:5], v[0:1], v[4:5]
	v_add_f32_e32 v1, v4, v5
	s_delay_alu instid0(VALU_DEP_1) | instskip(NEXT) | instid1(VALU_DEP_1)
	v_fmac_f32_e32 v1, v3, v2
	v_mov_b32_e32 v3, v1
	scratch_store_b32 off, v1, s94 offset:8
	s_wait_xcnt 0x0
	s_add_co_i32 s94, s94, 4
	s_or_b32 s93, vcc_lo, s93
	s_delay_alu instid0(SALU_CYCLE_1)
	s_and_not1_b32 exec_lo, exec_lo, s93
	s_cbranch_execnz .LBB0_320
	s_branch .LBB0_317
.LBB0_321:                              ;   in Loop: Header=BB0_225 Depth=1
	s_or_b32 exec_lo, exec_lo, s60
	v_mov_b32_e32 v45, 0
	s_and_saveexec_b32 s92, s14
	s_cbranch_execz .LBB0_385
; %bb.322:                              ;   in Loop: Header=BB0_225 Depth=1
	v_dual_mov_b32 v45, 0 :: v_dual_mov_b32 v46, v117
	v_mov_b32_e32 v47, v85
	s_mov_b32 s94, -1
	s_mov_b32 s93, 0
	s_mov_b32 s95, 0
	s_branch .LBB0_325
.LBB0_323:                              ;   in Loop: Header=BB0_325 Depth=2
	s_or_b32 exec_lo, exec_lo, s60
.LBB0_324:                              ;   in Loop: Header=BB0_325 Depth=2
	s_delay_alu instid0(SALU_CYCLE_1) | instskip(SKIP_1) | instid1(VALU_DEP_3)
	s_or_b32 exec_lo, exec_lo, vcc_hi
	v_cvt_f32_i32_e32 v0, v5
	v_mul_lo_u32 v1, v1, s72
	s_add_co_i32 s94, s94, 1
	v_dual_add_nc_u32 v47, -1, v47 :: v_dual_add_nc_u32 v46, -1, v46
	s_delay_alu instid0(VALU_DEP_3) | instskip(NEXT) | instid1(VALU_DEP_1)
	v_cndmask_b32_e64 v2, v0, 1.0, s19
	v_cmp_neq_f32_e32 vcc_lo, 0, v2
	v_cndmask_b32_e32 v0, 1.0, v17, vcc_lo
	s_delay_alu instid0(VALU_DEP_1) | instskip(NEXT) | instid1(VALU_DEP_1)
	v_frexp_mant_f32_e64 v3, |v0|
	v_cmp_gt_f32_e32 vcc_lo, 0x3f2aaaab, v3
	v_cndmask_b32_e64 v5, 1.0, 2.0, vcc_lo
	s_delay_alu instid0(VALU_DEP_1) | instskip(NEXT) | instid1(VALU_DEP_1)
	v_mul_f32_e32 v3, v3, v5
	v_add_f32_e32 v5, 1.0, v3
	v_cmp_eq_f32_e64 s61, 0, v0
	s_delay_alu instid0(VALU_DEP_2)
	v_rcp_f32_e32 v57, v5
	v_dual_add_f32 v58, -1.0, v5 :: v_dual_add_f32 v59, -1.0, v3
	s_delay_alu instid0(TRANS32_DEP_1) | instid1(VALU_DEP_1)
	v_mul_f32_e32 v72, v59, v57
	s_delay_alu instid0(VALU_DEP_1) | instskip(NEXT) | instid1(VALU_DEP_1)
	v_dual_mul_f32 v60, v5, v72 :: v_dual_sub_f32 v3, v3, v58
	v_fma_f32 v62, v72, v5, -v60
	s_delay_alu instid0(VALU_DEP_1) | instskip(NEXT) | instid1(VALU_DEP_1)
	v_fmac_f32_e32 v62, v72, v3
	v_add_f32_e32 v58, v60, v62
	s_delay_alu instid0(VALU_DEP_1) | instskip(NEXT) | instid1(VALU_DEP_1)
	v_dual_sub_f32 v61, v59, v58 :: v_dual_mov_b32 v63, v58
	v_pk_add_f32 v[58:59], v[58:59], v[60:61] neg_lo:[0,1] neg_hi:[0,1]
	s_delay_alu instid0(VALU_DEP_1) | instskip(SKIP_1) | instid1(VALU_DEP_2)
	v_pk_add_f32 v[58:59], v[58:59], v[62:63] neg_lo:[0,1] neg_hi:[0,1]
	v_cvt_f64_f32_e64 v[62:63], |v0|
	v_add_f32_e32 v3, v58, v59
	s_delay_alu instid0(VALU_DEP_1) | instskip(NEXT) | instid1(VALU_DEP_1)
	v_add_f32_e32 v3, v61, v3
	v_mul_f32_e32 v3, v57, v3
	s_delay_alu instid0(VALU_DEP_1) | instskip(NEXT) | instid1(VALU_DEP_1)
	v_add_f32_e32 v58, v72, v3
	v_dual_sub_f32 v5, v58, v72 :: v_dual_mul_f32 v57, v58, v58
	s_delay_alu instid0(VALU_DEP_1) | instskip(SKIP_1) | instid1(VALU_DEP_2)
	v_dual_sub_f32 v3, v3, v5 :: v_dual_fma_f32 v5, v58, v58, -v57
	v_frexp_exp_i32_f64_e32 v76, v[62:63]
	v_add_f32_e32 v59, v3, v3
	s_delay_alu instid0(VALU_DEP_1) | instskip(NEXT) | instid1(VALU_DEP_1)
	v_fmac_f32_e32 v5, v58, v59
	v_add_f32_e32 v60, v57, v5
	s_delay_alu instid0(VALU_DEP_1) | instskip(SKIP_1) | instid1(VALU_DEP_1)
	v_fmaak_f32 v59, s89, v60, 0x3e91f4c4
	v_sub_f32_e32 v57, v60, v57
	v_sub_f32_e32 v5, v5, v57
	s_delay_alu instid0(VALU_DEP_3) | instskip(NEXT) | instid1(VALU_DEP_1)
	v_fmaak_f32 v59, v60, v59, 0x3ecccdef
	v_mul_f32_e32 v61, v60, v59
	s_delay_alu instid0(VALU_DEP_1) | instskip(NEXT) | instid1(VALU_DEP_1)
	v_fma_f32 v57, v60, v59, -v61
	v_fmac_f32_e32 v57, v5, v59
	s_delay_alu instid0(VALU_DEP_1) | instskip(NEXT) | instid1(VALU_DEP_1)
	v_add_f32_e32 v72, v61, v57
	v_add_f32_e32 v73, 0x3f2aaaaa, v72
	v_sub_f32_e32 v59, v72, v61
	s_delay_alu instid0(VALU_DEP_2) | instskip(NEXT) | instid1(VALU_DEP_1)
	v_add_f32_e32 v61, 0xbf2aaaaa, v73
	v_dual_sub_f32 v61, v72, v61 :: v_dual_sub_f32 v57, v57, v59
	s_delay_alu instid0(VALU_DEP_1) | instskip(NEXT) | instid1(VALU_DEP_1)
	v_add_f32_e32 v59, 0x31739010, v57
	v_pk_mul_f32 v[62:63], v[58:59], v[60:61]
	v_pk_add_f32 v[74:75], v[58:59], v[60:61]
	s_delay_alu instid0(VALU_DEP_1) | instskip(NEXT) | instid1(VALU_DEP_1)
	v_dual_fma_f32 v72, v60, v58, -v62 :: v_dual_mov_b32 v63, v75
	v_fmac_f32_e32 v72, v60, v3
	v_ldexp_f32 v3, v3, 1
	s_delay_alu instid0(VALU_DEP_2) | instskip(SKIP_1) | instid1(VALU_DEP_2)
	v_fmac_f32_e32 v72, v5, v58
	v_subrev_co_ci_u32_e64 v5, null, 0, v76, vcc_lo
	v_pk_add_f32 v[60:61], v[62:63], v[72:73]
	s_delay_alu instid0(VALU_DEP_2) | instskip(NEXT) | instid1(VALU_DEP_2)
	v_cvt_f32_i32_e32 v5, v5
	v_mov_b32_e32 v74, v61
	s_delay_alu instid0(VALU_DEP_3) | instskip(NEXT) | instid1(VALU_DEP_2)
	v_dual_sub_f32 v57, v73, v61 :: v_dual_sub_f32 v59, v60, v62
	v_pk_mul_f32 v[76:77], v[60:61], v[74:75]
	s_delay_alu instid0(VALU_DEP_2) | instskip(NEXT) | instid1(VALU_DEP_3)
	v_add_f32_e32 v57, v75, v57
	v_dual_mul_f32 v74, 0x3f317218, v5 :: v_dual_sub_f32 v59, v72, v59
	s_delay_alu instid0(VALU_DEP_3) | instskip(NEXT) | instid1(VALU_DEP_1)
	v_fma_f32 v62, v60, v61, -v76
	v_fmac_f32_e32 v62, v60, v57
	s_delay_alu instid0(VALU_DEP_3) | instskip(NEXT) | instid1(VALU_DEP_2)
	v_fma_f32 v60, 0x3f317218, v5, -v74
	v_fmac_f32_e32 v62, v59, v61
	s_delay_alu instid0(VALU_DEP_2) | instskip(SKIP_1) | instid1(VALU_DEP_3)
	v_fmac_f32_e32 v60, 0xb102e308, v5
	v_ldexp_f32 v61, v58, 1
	v_dual_sub_nc_u32 v5, 0, v1 :: v_dual_add_f32 v75, v76, v62
	s_delay_alu instid0(VALU_DEP_2) | instskip(NEXT) | instid1(VALU_DEP_2)
	v_mov_b32_e32 v77, v61
	v_max_i32_e32 v5, v1, v5
	s_delay_alu instid0(VALU_DEP_3) | instskip(SKIP_1) | instid1(VALU_DEP_2)
	v_pk_add_f32 v[58:59], v[74:75], v[60:61]
	v_dual_mov_b32 v72, v75 :: v_dual_mov_b32 v63, v75
	v_dual_mov_b32 v61, v58 :: v_dual_mov_b32 v73, v59
	v_mov_b32_e32 v88, v59
	s_delay_alu instid0(VALU_DEP_2) | instskip(NEXT) | instid1(VALU_DEP_1)
	v_pk_add_f32 v[72:73], v[72:73], v[76:77] neg_lo:[0,1] neg_hi:[0,1]
	v_pk_add_f32 v[62:63], v[62:63], v[72:73] neg_lo:[0,1] neg_hi:[0,1]
	s_delay_alu instid0(VALU_DEP_1) | instskip(NEXT) | instid1(VALU_DEP_1)
	v_add_f32_e32 v3, v3, v62
	v_add_f32_e32 v75, v3, v63
	s_delay_alu instid0(VALU_DEP_1) | instskip(SKIP_1) | instid1(VALU_DEP_2)
	v_pk_add_f32 v[62:63], v[58:59], v[74:75]
	v_pk_add_f32 v[72:73], v[58:59], v[74:75] neg_lo:[0,1] neg_hi:[0,1]
	v_mov_b32_e32 v73, v63
	s_delay_alu instid0(VALU_DEP_1) | instskip(SKIP_2) | instid1(VALU_DEP_3)
	v_pk_add_f32 v[76:77], v[60:61], v[72:73]
	v_mov_b32_e32 v76, v63
	v_pk_add_f32 v[60:61], v[60:61], v[72:73] neg_lo:[0,1] neg_hi:[0,1]
	v_mov_b32_e32 v74, v77
	s_delay_alu instid0(VALU_DEP_1) | instskip(NEXT) | instid1(VALU_DEP_1)
	v_pk_add_f32 v[78:79], v[74:75], v[58:59] neg_lo:[0,1] neg_hi:[0,1]
	v_dual_mov_b32 v59, v58 :: v_dual_mov_b32 v89, v78
	v_dual_mov_b32 v58, v75 :: v_dual_mov_b32 v3, v78
	s_delay_alu instid0(VALU_DEP_2) | instskip(NEXT) | instid1(VALU_DEP_2)
	v_pk_add_f32 v[72:73], v[76:77], v[88:89] neg_lo:[0,1] neg_hi:[0,1]
	v_pk_add_f32 v[62:63], v[62:63], v[2:3] neg_lo:[0,1] neg_hi:[0,1]
	v_mov_b32_e32 v62, v60
	s_delay_alu instid0(VALU_DEP_3) | instskip(NEXT) | instid1(VALU_DEP_1)
	v_pk_add_f32 v[58:59], v[58:59], v[72:73] neg_lo:[0,1] neg_hi:[0,1]
	v_pk_add_f32 v[62:63], v[62:63], v[58:59]
	s_delay_alu instid0(VALU_DEP_1) | instskip(NEXT) | instid1(VALU_DEP_1)
	v_mov_b32_e32 v72, v63
	v_pk_add_f32 v[72:73], v[62:63], v[72:73]
	s_delay_alu instid0(VALU_DEP_1) | instskip(SKIP_1) | instid1(VALU_DEP_2)
	v_pk_add_f32 v[74:75], v[74:75], v[72:73]
	v_dual_mov_b32 v61, v77 :: v_dual_sub_nc_u32 v73, 0, v4
	v_mov_b32_e32 v63, v74
	s_delay_alu instid0(VALU_DEP_1) | instskip(NEXT) | instid1(VALU_DEP_1)
	v_pk_add_f32 v[76:77], v[62:63], v[60:61] neg_lo:[0,1] neg_hi:[0,1]
	v_dual_mov_b32 v59, v72 :: v_dual_sub_f32 v3, v62, v76
	s_delay_alu instid0(VALU_DEP_1) | instskip(NEXT) | instid1(VALU_DEP_2)
	v_pk_add_f32 v[58:59], v[58:59], v[76:77] neg_lo:[0,1] neg_hi:[0,1]
	v_sub_f32_e32 v3, v60, v3
	v_cvt_f32_u32_e32 v60, v5
	s_delay_alu instid0(VALU_DEP_2) | instskip(NEXT) | instid1(VALU_DEP_1)
	v_add_f32_e32 v3, v58, v3
	v_add_f32_e32 v3, v3, v59
	s_delay_alu instid0(VALU_DEP_1) | instskip(NEXT) | instid1(VALU_DEP_1)
	v_add_f32_e32 v57, v74, v3
	v_sub_f32_e32 v58, v57, v74
	s_delay_alu instid0(VALU_DEP_1) | instskip(SKIP_1) | instid1(VALU_DEP_1)
	v_dual_sub_f32 v3, v3, v58 :: v_dual_mul_f32 v59, v2, v57
	v_rcp_iflag_f32_e32 v58, v60
	v_fma_f32 v57, v2, v57, -v59
	s_delay_alu instid0(VALU_DEP_1) | instskip(NEXT) | instid1(TRANS32_DEP_1)
	v_fmac_f32_e32 v57, v2, v3
	v_mul_f32_e32 v3, 0x4f7ffffe, v58
	v_cmp_class_f32_e64 vcc_lo, v59, 0x204
	s_delay_alu instid0(VALU_DEP_3) | instskip(SKIP_1) | instid1(VALU_DEP_4)
	v_add_f32_e32 v58, v59, v57
	v_sub_nc_u32_e32 v60, 0, v5
	v_cvt_u32_f32_e32 v3, v3
	s_delay_alu instid0(VALU_DEP_3) | instskip(NEXT) | instid1(VALU_DEP_2)
	v_dual_cndmask_b32 v61, v58, v59 :: v_dual_sub_f32 v58, v58, v59
	v_mul_lo_u32 v60, v60, v3
	v_xor_b32_e32 v1, v4, v1
	s_delay_alu instid0(VALU_DEP_3) | instskip(SKIP_4) | instid1(VALU_DEP_3)
	v_cmp_eq_f32_e32 vcc_lo, 0x42b17218, v61
	v_cmp_neq_f32_e64 s62, 0x7f800000, |v61|
	v_cndmask_b32_e64 v62, 0, 0x37000000, vcc_lo
	v_cmp_gt_f32_e32 vcc_lo, 0, v2
	v_mul_hi_u32 v60, v3, v60
	v_dual_sub_f32 v63, v61, v62 :: v_dual_max_i32 v73, v4, v73
	s_delay_alu instid0(VALU_DEP_1) | instskip(NEXT) | instid1(VALU_DEP_1)
	v_dual_mul_f32 v72, 0x3fb8aa3b, v63 :: v_dual_add_nc_u32 v3, v3, v60
	v_fma_f32 v74, 0x3fb8aa3b, v63, -v72
	v_rndne_f32_e32 v75, v72
	s_delay_alu instid0(VALU_DEP_3) | instskip(NEXT) | instid1(VALU_DEP_3)
	v_mul_hi_u32 v3, v73, v3
	v_fmac_f32_e32 v74, 0x32a5705f, v63
	s_delay_alu instid0(VALU_DEP_3) | instskip(SKIP_2) | instid1(VALU_DEP_3)
	v_sub_f32_e32 v60, v72, v75
	v_trunc_f32_e32 v72, v2
	v_cvt_i32_f32_e32 v4, v75
	v_add_f32_e32 v60, v60, v74
	v_mul_f32_e32 v74, 0.5, v2
	s_delay_alu instid0(VALU_DEP_4) | instskip(SKIP_1) | instid1(VALU_DEP_4)
	v_cmp_eq_f32_e64 s60, v72, v2
	v_sub_f32_e32 v2, v57, v58
	v_exp_f32_e32 v59, v60
	v_nop
	v_mul_lo_u32 v60, v3, v5
	v_trunc_f32_e32 v57, v74
	s_delay_alu instid0(TRANS32_DEP_1) | instskip(SKIP_3) | instid1(VALU_DEP_2)
	v_ldexp_f32 v4, v59, v4
	v_cndmask_b32_e64 v2, 0, v2, s62
	v_cmp_ngt_f32_e64 s62, 0xc2ce8ed0, v63
	v_sub_nc_u32_e32 v59, v73, v60
	v_cndmask_b32_e64 v4, 0, v4, s62
	v_cmp_nlt_f32_e64 s62, 0x42b17218, v63
	v_dual_add_nc_u32 v58, 1, v3 :: v_dual_add_f32 v2, v62, v2
	s_delay_alu instid0(VALU_DEP_4) | instskip(SKIP_1) | instid1(VALU_DEP_4)
	v_cmp_ge_u32_e64 s63, v59, v5
	v_ashrrev_i32_e32 v1, 31, v1
	v_cndmask_b32_e64 v4, 0x7f800000, v4, s62
	v_cmp_neq_f32_e64 s62, v57, v74
	v_sub_nc_u32_e32 v57, v59, v5
	v_cndmask_b32_e64 v3, v3, v58, s63
	s_delay_alu instid0(VALU_DEP_4) | instskip(SKIP_2) | instid1(SALU_CYCLE_1)
	v_fma_f32 v2, v4, v2, v4
	v_cmp_class_f32_e64 s72, v4, 0x204
	s_and_b32 s62, s60, s62
	v_cndmask_b32_e64 v58, 1.0, v0, s62
	v_dual_cndmask_b32 v2, v2, v4, s72 :: v_dual_cndmask_b32 v4, v59, v57, s63
	v_add_nc_u32_e32 v57, 1, v3
	s_xor_b32 s63, vcc_lo, s61
	s_delay_alu instid0(VALU_DEP_2) | instskip(NEXT) | instid1(VALU_DEP_3)
	v_bfi_b32 v2, 0x7fffffff, v2, v58
	v_cmp_ge_u32_e32 vcc_lo, v4, v5
	v_cndmask_b32_e64 v59, 0x7f800000, 0, s63
	v_cndmask_b32_e64 v58, 0, v0, s62
	s_delay_alu instid0(VALU_DEP_4) | instskip(SKIP_4) | instid1(VALU_DEP_4)
	v_cndmask_b32_e64 v4, 0x7fc00000, v2, s60
	v_cndmask_b32_e32 v3, v3, v57, vcc_lo
	v_cmp_gt_f32_e32 vcc_lo, 0, v0
	v_cmp_class_f32_e64 s60, v0, 0x204
	v_bfi_b32 v5, 0x7fffffff, v59, v58
	v_dual_cndmask_b32 v2, v2, v4, vcc_lo :: v_dual_bitop2_b32 v3, v3, v1 bitop3:0x14
	s_or_b32 vcc_lo, s61, s60
	s_add_co_i32 s60, s95, 1
	s_delay_alu instid0(VALU_DEP_1) | instskip(SKIP_1) | instid1(VALU_DEP_2)
	v_cndmask_b32_e32 v2, v2, v5, vcc_lo
	v_cmp_o_f32_e32 vcc_lo, v0, v0
	v_dual_cndmask_b32 v0, 0x7fc00000, v2 :: v_dual_sub_nc_u32 v1, v3, v1
	s_delay_alu instid0(VALU_DEP_1) | instskip(SKIP_2) | instid1(VALU_DEP_2)
	v_cvt_f32_i32_e32 v1, v1
	v_cmp_eq_u32_e32 vcc_lo, s95, v28
	s_mov_b32 s95, s60
	v_mul_f32_e32 v0, v0, v1
	s_or_b32 s93, vcc_lo, s93
	s_delay_alu instid0(VALU_DEP_1)
	v_fmac_f32_e32 v45, v56, v0
	s_and_not1_b32 exec_lo, exec_lo, s93
	s_cbranch_execz .LBB0_384
.LBB0_325:                              ;   Parent Loop BB0_225 Depth=1
                                        ; =>  This Loop Header: Depth=2
                                        ;       Child Loop BB0_332 Depth 3
                                        ;         Child Loop BB0_335 Depth 4
                                        ;         Child Loop BB0_339 Depth 4
	;; [unrolled: 1-line block ×6, first 2 shown]
                                        ;       Child Loop BB0_361 Depth 3
                                        ;       Child Loop BB0_365 Depth 3
                                        ;       Child Loop BB0_370 Depth 3
                                        ;       Child Loop BB0_374 Depth 3
                                        ;       Child Loop BB0_378 Depth 3
                                        ;       Child Loop BB0_382 Depth 3
	v_mov_b32_e32 v56, 0
	s_and_saveexec_b32 vcc_hi, s15
	s_cbranch_execnz .LBB0_328
; %bb.326:                              ;   in Loop: Header=BB0_325 Depth=2
	s_or_b32 exec_lo, exec_lo, vcc_hi
	v_mov_b32_e32 v4, 1
	s_and_saveexec_b32 s72, s18
	s_cbranch_execnz .LBB0_359
.LBB0_327:                              ;   in Loop: Header=BB0_325 Depth=2
	s_or_b32 exec_lo, exec_lo, s72
	s_cmp_lt_u32 s95, 2
	s_mov_b32 s72, 1
	s_cbranch_scc0 .LBB0_368
	s_branch .LBB0_375
.LBB0_328:                              ;   in Loop: Header=BB0_325 Depth=2
	v_lshl_add_u32 v57, s95, 2, v38
	v_dual_mov_b32 v56, 0 :: v_dual_mov_b32 v58, v116
	v_mov_b32_e32 v59, v86
	s_mov_b32 s31, -1
	s_mov_b32 s30, 0
	s_mov_b32 s34, 0
	s_branch .LBB0_332
.LBB0_329:                              ;   in Loop: Header=BB0_332 Depth=3
	s_or_b32 exec_lo, exec_lo, s61
.LBB0_330:                              ;   in Loop: Header=BB0_332 Depth=3
	s_delay_alu instid0(SALU_CYCLE_1)
	s_or_b32 exec_lo, exec_lo, s60
.LBB0_331:                              ;   in Loop: Header=BB0_332 Depth=3
	s_delay_alu instid0(SALU_CYCLE_1)
	s_or_b32 exec_lo, exec_lo, s35
	v_cvt_f32_i32_e32 v0, v4
	s_mul_i32 s60, s34, 28
	v_add_nc_u32_e32 v58, -1, v58
	scratch_load_b32 v90, v57, s60
	s_add_co_i32 s31, s31, 1
	v_cndmask_b32_e64 v63, v0, 1.0, s17
	v_add_nc_u32_e32 v59, -1, v59
	s_delay_alu instid0(VALU_DEP_2) | instskip(SKIP_1) | instid1(VALU_DEP_1)
	v_cmp_neq_f32_e32 vcc_lo, 0, v63
	v_cndmask_b32_e32 v62, 1.0, v20, vcc_lo
	v_frexp_mant_f32_e64 v0, |v62|
	s_delay_alu instid0(VALU_DEP_1) | instskip(SKIP_1) | instid1(VALU_DEP_1)
	v_cmp_gt_f32_e32 vcc_lo, 0x3f2aaaab, v0
	v_cndmask_b32_e64 v1, 1.0, 2.0, vcc_lo
	v_mul_f32_e32 v0, v0, v1
	v_cmp_eq_f32_e64 s61, 0, v62
	s_delay_alu instid0(VALU_DEP_2) | instskip(NEXT) | instid1(VALU_DEP_1)
	v_dual_add_f32 v3, 1.0, v0 :: v_dual_add_f32 v1, -1.0, v0
	v_rcp_f32_e32 v72, v3
	v_add_f32_e32 v4, -1.0, v3
	s_delay_alu instid0(VALU_DEP_1) | instskip(NEXT) | instid1(TRANS32_DEP_1)
	v_sub_f32_e32 v0, v0, v4
	v_mul_f32_e32 v73, v1, v72
	s_delay_alu instid0(VALU_DEP_1) | instskip(NEXT) | instid1(VALU_DEP_1)
	v_mul_f32_e32 v2, v3, v73
	v_fma_f32 v4, v73, v3, -v2
	s_delay_alu instid0(VALU_DEP_1) | instskip(NEXT) | instid1(VALU_DEP_1)
	v_fmac_f32_e32 v4, v73, v0
	v_add_f32_e32 v0, v2, v4
	s_delay_alu instid0(VALU_DEP_1) | instskip(NEXT) | instid1(VALU_DEP_1)
	v_dual_sub_f32 v3, v1, v0 :: v_dual_mov_b32 v5, v0
	v_pk_add_f32 v[0:1], v[0:1], v[2:3] neg_lo:[0,1] neg_hi:[0,1]
	s_delay_alu instid0(VALU_DEP_1) | instskip(NEXT) | instid1(VALU_DEP_1)
	v_pk_add_f32 v[0:1], v[0:1], v[4:5] neg_lo:[0,1] neg_hi:[0,1]
	v_add_f32_e32 v0, v0, v1
	s_delay_alu instid0(VALU_DEP_1) | instskip(NEXT) | instid1(VALU_DEP_1)
	v_add_f32_e32 v0, v3, v0
	v_mul_f32_e32 v1, v72, v0
	s_delay_alu instid0(VALU_DEP_1) | instskip(NEXT) | instid1(VALU_DEP_1)
	v_add_f32_e32 v0, v73, v1
	v_dual_sub_f32 v2, v0, v73 :: v_dual_mul_f32 v3, v0, v0
	s_delay_alu instid0(VALU_DEP_1) | instskip(NEXT) | instid1(VALU_DEP_1)
	v_dual_sub_f32 v78, v1, v2 :: v_dual_fma_f32 v1, v0, v0, -v3
	v_add_f32_e32 v2, v78, v78
	s_delay_alu instid0(VALU_DEP_1) | instskip(NEXT) | instid1(VALU_DEP_1)
	v_fmac_f32_e32 v1, v0, v2
	v_add_f32_e32 v2, v3, v1
	s_delay_alu instid0(VALU_DEP_1) | instskip(NEXT) | instid1(VALU_DEP_1)
	v_dual_fmaak_f32 v4, s89, v2, 0x3e91f4c4 :: v_dual_sub_f32 v3, v2, v3
	v_fmaak_f32 v72, v2, v4, 0x3ecccdef
	v_cvt_f64_f32_e64 v[4:5], |v62|
	s_delay_alu instid0(VALU_DEP_2) | instskip(NEXT) | instid1(VALU_DEP_1)
	v_dual_sub_f32 v76, v1, v3 :: v_dual_mul_f32 v73, v2, v72
	v_fma_f32 v1, v2, v72, -v73
	s_delay_alu instid0(VALU_DEP_1) | instskip(NEXT) | instid1(VALU_DEP_1)
	v_fmac_f32_e32 v1, v76, v72
	v_add_f32_e32 v3, v73, v1
	s_delay_alu instid0(VALU_DEP_1) | instskip(NEXT) | instid1(VALU_DEP_1)
	v_dual_sub_f32 v72, v3, v73 :: v_dual_add_f32 v73, 0x3f2aaaaa, v3
	v_dual_sub_f32 v1, v1, v72 :: v_dual_add_f32 v72, 0xbf2aaaaa, v73
	v_frexp_exp_i32_f64_e32 v77, v[4:5]
	s_delay_alu instid0(VALU_DEP_2) | instskip(NEXT) | instid1(VALU_DEP_3)
	v_sub_f32_e32 v3, v3, v72
	v_add_f32_e32 v1, 0x31739010, v1
	s_delay_alu instid0(VALU_DEP_1) | instskip(NEXT) | instid1(VALU_DEP_1)
	v_pk_mul_f32 v[4:5], v[0:1], v[2:3]
	v_fma_f32 v72, v2, v0, -v4
	s_delay_alu instid0(VALU_DEP_1) | instskip(NEXT) | instid1(VALU_DEP_1)
	v_fmac_f32_e32 v72, v2, v78
	v_fmac_f32_e32 v72, v76, v0
	v_pk_add_f32 v[74:75], v[0:1], v[2:3]
	s_delay_alu instid0(VALU_DEP_1) | instskip(SKIP_1) | instid1(VALU_DEP_2)
	v_mov_b32_e32 v5, v75
	v_subrev_co_ci_u32_e64 v1, null, 0, v77, vcc_lo
	v_pk_add_f32 v[2:3], v[4:5], v[72:73]
	s_delay_alu instid0(VALU_DEP_2) | instskip(NEXT) | instid1(VALU_DEP_2)
	v_cvt_f32_i32_e32 v1, v1
	v_dual_mov_b32 v74, v3 :: v_dual_sub_f32 v5, v73, v3
	s_delay_alu instid0(VALU_DEP_3) | instskip(NEXT) | instid1(VALU_DEP_2)
	v_sub_f32_e32 v73, v2, v4
	v_pk_mul_f32 v[76:77], v[2:3], v[74:75]
	s_delay_alu instid0(VALU_DEP_3) | instskip(NEXT) | instid1(VALU_DEP_2)
	v_add_f32_e32 v5, v75, v5
	v_dual_sub_f32 v72, v72, v73 :: v_dual_fma_f32 v4, v2, v3, -v76
	s_delay_alu instid0(VALU_DEP_1) | instskip(NEXT) | instid1(VALU_DEP_1)
	v_fmac_f32_e32 v4, v2, v5
	v_fmac_f32_e32 v4, v72, v3
	v_mul_f32_e32 v74, 0x3f317218, v1
	v_ldexp_f32 v3, v0, 1
	s_delay_alu instid0(VALU_DEP_3) | instskip(NEXT) | instid1(VALU_DEP_3)
	v_add_f32_e32 v75, v76, v4
	v_fma_f32 v2, 0x3f317218, v1, -v74
	s_delay_alu instid0(VALU_DEP_2) | instskip(NEXT) | instid1(VALU_DEP_2)
	v_dual_mov_b32 v77, v3 :: v_dual_mov_b32 v72, v75
	v_fmac_f32_e32 v2, 0xb102e308, v1
	s_delay_alu instid0(VALU_DEP_1) | instskip(SKIP_2) | instid1(VALU_DEP_3)
	v_pk_add_f32 v[0:1], v[74:75], v[2:3]
	v_mov_b32_e32 v5, v75
	v_ldexp_f32 v3, v78, 1
	v_mov_b32_e32 v73, v1
	s_delay_alu instid0(VALU_DEP_1) | instskip(NEXT) | instid1(VALU_DEP_1)
	v_pk_add_f32 v[72:73], v[72:73], v[76:77] neg_lo:[0,1] neg_hi:[0,1]
	v_pk_add_f32 v[4:5], v[4:5], v[72:73] neg_lo:[0,1] neg_hi:[0,1]
	s_delay_alu instid0(VALU_DEP_1) | instskip(NEXT) | instid1(VALU_DEP_1)
	v_add_f32_e32 v3, v3, v4
	v_dual_add_f32 v75, v3, v5 :: v_dual_mov_b32 v3, v0
	s_delay_alu instid0(VALU_DEP_1) | instskip(SKIP_1) | instid1(VALU_DEP_2)
	v_pk_add_f32 v[4:5], v[0:1], v[74:75]
	v_pk_add_f32 v[72:73], v[0:1], v[74:75] neg_lo:[0,1] neg_hi:[0,1]
	v_dual_mov_b32 v88, v1 :: v_dual_mov_b32 v73, v5
	s_delay_alu instid0(VALU_DEP_1) | instskip(SKIP_2) | instid1(VALU_DEP_3)
	v_pk_add_f32 v[76:77], v[2:3], v[72:73]
	v_mov_b32_e32 v76, v5
	v_pk_add_f32 v[2:3], v[2:3], v[72:73] neg_lo:[0,1] neg_hi:[0,1]
	v_mov_b32_e32 v74, v77
	s_delay_alu instid0(VALU_DEP_1) | instskip(SKIP_1) | instid1(VALU_DEP_2)
	v_pk_add_f32 v[78:79], v[74:75], v[0:1] neg_lo:[0,1] neg_hi:[0,1]
	v_dual_mov_b32 v1, v0 :: v_dual_mov_b32 v0, v75
	v_dual_mov_b32 v75, v78 :: v_dual_mov_b32 v89, v78
	s_delay_alu instid0(VALU_DEP_1) | instskip(NEXT) | instid1(VALU_DEP_2)
	v_pk_add_f32 v[4:5], v[4:5], v[74:75] neg_lo:[0,1] neg_hi:[0,1]
	v_pk_add_f32 v[72:73], v[76:77], v[88:89] neg_lo:[0,1] neg_hi:[0,1]
	v_mov_b32_e32 v4, v2
	s_delay_alu instid0(VALU_DEP_2) | instskip(NEXT) | instid1(VALU_DEP_1)
	v_pk_add_f32 v[0:1], v[0:1], v[72:73] neg_lo:[0,1] neg_hi:[0,1]
	v_pk_add_f32 v[4:5], v[4:5], v[0:1]
	s_delay_alu instid0(VALU_DEP_1) | instskip(NEXT) | instid1(VALU_DEP_1)
	v_mov_b32_e32 v72, v5
	v_pk_add_f32 v[72:73], v[4:5], v[72:73]
	s_delay_alu instid0(VALU_DEP_1) | instskip(NEXT) | instid1(VALU_DEP_1)
	v_pk_add_f32 v[74:75], v[74:75], v[72:73]
	v_dual_mov_b32 v3, v77 :: v_dual_mov_b32 v5, v74
	s_delay_alu instid0(VALU_DEP_1) | instskip(NEXT) | instid1(VALU_DEP_1)
	v_pk_add_f32 v[76:77], v[4:5], v[2:3] neg_lo:[0,1] neg_hi:[0,1]
	v_sub_f32_e32 v3, v4, v76
	s_delay_alu instid0(VALU_DEP_1) | instskip(SKIP_1) | instid1(VALU_DEP_2)
	v_dual_mov_b32 v1, v72 :: v_dual_sub_f32 v2, v2, v3
	v_mul_lo_u32 v3, v61, s72
	v_pk_add_f32 v[0:1], v[0:1], v[76:77] neg_lo:[0,1] neg_hi:[0,1]
	s_delay_alu instid0(VALU_DEP_1) | instskip(NEXT) | instid1(VALU_DEP_1)
	v_add_f32_e32 v0, v0, v2
	v_dual_add_f32 v0, v0, v1 :: v_dual_sub_nc_u32 v1, 0, v3
	s_delay_alu instid0(VALU_DEP_1) | instskip(NEXT) | instid1(VALU_DEP_1)
	v_dual_add_f32 v2, v74, v0 :: v_dual_max_i32 v1, v3, v1
	v_cvt_f32_u32_e32 v61, v1
	s_delay_alu instid0(VALU_DEP_2) | instskip(NEXT) | instid1(VALU_DEP_1)
	v_sub_f32_e32 v4, v2, v74
	v_sub_f32_e32 v0, v0, v4
	s_delay_alu instid0(VALU_DEP_3) | instskip(SKIP_1) | instid1(VALU_DEP_1)
	v_rcp_iflag_f32_e32 v4, v61
	v_dual_sub_nc_u32 v61, 0, v1 :: v_dual_mul_f32 v5, v63, v2
	v_fma_f32 v2, v63, v2, -v5
	s_delay_alu instid0(VALU_DEP_1) | instskip(NEXT) | instid1(TRANS32_DEP_1)
	v_fmac_f32_e32 v2, v63, v0
	v_mul_f32_e32 v0, 0x4f7ffffe, v4
	v_cmp_class_f32_e64 vcc_lo, v5, 0x204
	s_delay_alu instid0(VALU_DEP_3) | instskip(NEXT) | instid1(VALU_DEP_3)
	v_add_f32_e32 v4, v5, v2
	v_cvt_u32_f32_e32 v0, v0
	s_delay_alu instid0(VALU_DEP_2) | instskip(NEXT) | instid1(VALU_DEP_2)
	v_cndmask_b32_e32 v72, v4, v5, vcc_lo
	v_mul_lo_u32 v61, v61, v0
	s_delay_alu instid0(VALU_DEP_2) | instskip(SKIP_2) | instid1(VALU_DEP_4)
	v_cmp_eq_f32_e32 vcc_lo, 0x42b17218, v72
	v_cndmask_b32_e64 v73, 0, 0x37000000, vcc_lo
	v_cmp_gt_f32_e32 vcc_lo, 0, v63
	v_mul_hi_u32 v61, v0, v61
	s_delay_alu instid0(VALU_DEP_3) | instskip(NEXT) | instid1(VALU_DEP_1)
	v_dual_sub_nc_u32 v76, 0, v60 :: v_dual_sub_f32 v74, v72, v73
	v_mul_f32_e32 v75, 0x3fb8aa3b, v74
	v_cmp_neq_f32_e64 s62, 0x7f800000, |v72|
	v_sub_f32_e32 v4, v4, v5
	v_add_nc_u32_e32 v0, v0, v61
	v_xor_b32_e32 v3, v60, v3
	v_fma_f32 v77, 0x3fb8aa3b, v74, -v75
	v_rndne_f32_e32 v78, v75
	v_max_i32_e32 v76, v60, v76
	s_delay_alu instid0(VALU_DEP_3) | instskip(NEXT) | instid1(VALU_DEP_3)
	v_dual_sub_f32 v2, v2, v4 :: v_dual_fmac_f32 v77, 0x32a5705f, v74
	v_sub_f32_e32 v61, v75, v78
	s_delay_alu instid0(VALU_DEP_3) | instskip(SKIP_1) | instid1(VALU_DEP_4)
	v_mul_hi_u32 v0, v76, v0
	v_cvt_i32_f32_e32 v60, v78
	v_cndmask_b32_e64 v2, 0, v2, s62
	v_cmp_ngt_f32_e64 s62, 0xc2ce8ed0, v74
	v_dual_add_f32 v61, v61, v77 :: v_dual_mul_f32 v77, 0.5, v63
	v_trunc_f32_e32 v75, v63
	s_delay_alu instid0(VALU_DEP_4) | instskip(NEXT) | instid1(VALU_DEP_3)
	v_add_f32_e32 v2, v73, v2
	v_exp_f32_e32 v5, v61
	s_delay_alu instid0(VALU_DEP_3) | instskip(SKIP_3) | instid1(TRANS32_DEP_1)
	v_trunc_f32_e32 v4, v77
	v_mul_lo_u32 v61, v0, v1
	s_wait_xcnt 0x0
	v_cmp_eq_f32_e64 s60, v75, v63
	v_ldexp_f32 v5, v5, v60
	s_delay_alu instid0(VALU_DEP_1) | instskip(NEXT) | instid1(VALU_DEP_4)
	v_dual_add_nc_u32 v60, 1, v0 :: v_dual_cndmask_b32 v5, 0, v5, s62
	v_sub_nc_u32_e32 v61, v76, v61
	v_cmp_nlt_f32_e64 s62, 0x42b17218, v74
	s_delay_alu instid0(VALU_DEP_2) | instskip(NEXT) | instid1(VALU_DEP_2)
	v_cmp_ge_u32_e64 s63, v61, v1
	v_cndmask_b32_e64 v5, 0x7f800000, v5, s62
	v_cmp_neq_f32_e64 s62, v4, v77
	s_delay_alu instid0(VALU_DEP_3) | instskip(NEXT) | instid1(VALU_DEP_3)
	v_dual_ashrrev_i32 v3, 31, v3 :: v_dual_cndmask_b32 v0, v0, v60, s63
	v_fma_f32 v2, v5, v2, v5
	s_and_b32 s62, s60, s62
	s_delay_alu instid0(SALU_CYCLE_1) | instskip(SKIP_1) | instid1(VALU_DEP_2)
	v_dual_sub_nc_u32 v4, v61, v1 :: v_dual_cndmask_b32 v60, 1.0, v62, s62
	v_cmp_class_f32_e64 s72, v5, 0x204
	v_cndmask_b32_e64 v4, v61, v4, s63
	s_xor_b32 s63, vcc_lo, s61
	v_dual_cndmask_b32 v2, v2, v5, s72 :: v_dual_add_nc_u32 v5, 1, v0
	v_cndmask_b32_e64 v61, 0x7f800000, 0, s63
	s_delay_alu instid0(VALU_DEP_3) | instskip(NEXT) | instid1(VALU_DEP_3)
	v_cmp_ge_u32_e32 vcc_lo, v4, v1
	v_bfi_b32 v2, 0x7fffffff, v2, v60
	s_delay_alu instid0(VALU_DEP_4) | instskip(SKIP_1) | instid1(VALU_DEP_3)
	v_dual_cndmask_b32 v60, 0, v62, s62 :: v_dual_cndmask_b32 v0, v0, v5, vcc_lo
	v_cmp_gt_f32_e32 vcc_lo, 0, v62
	v_cndmask_b32_e64 v1, 0x7fc00000, v2, s60
	v_cmp_class_f32_e64 s60, v62, 0x204
	s_delay_alu instid0(VALU_DEP_4) | instskip(NEXT) | instid1(VALU_DEP_3)
	v_bfi_b32 v4, 0x7fffffff, v61, v60
	v_dual_cndmask_b32 v1, v2, v1, vcc_lo :: v_dual_bitop2_b32 v0, v0, v3 bitop3:0x14
	s_or_b32 vcc_lo, s61, s60
	s_add_co_i32 s60, s34, 1
	s_delay_alu instid0(VALU_DEP_1) | instskip(SKIP_1) | instid1(VALU_DEP_2)
	v_dual_cndmask_b32 v1, v1, v4 :: v_dual_sub_nc_u32 v0, v0, v3
	v_cmp_o_f32_e32 vcc_lo, v62, v62
	v_cvt_f32_i32_e32 v0, v0
	s_delay_alu instid0(VALU_DEP_3) | instskip(SKIP_2) | instid1(VALU_DEP_2)
	v_cndmask_b32_e32 v1, 0x7fc00000, v1, vcc_lo
	v_cmp_eq_u32_e32 vcc_lo, s34, v25
	s_mov_b32 s34, s60
	v_mul_f32_e32 v0, v1, v0
	s_or_b32 s30, vcc_lo, s30
	s_wait_loadcnt 0x0
	s_delay_alu instid0(VALU_DEP_1)
	v_fmac_f32_e32 v56, v90, v0
	s_and_not1_b32 exec_lo, exec_lo, s30
	s_cbranch_execz .LBB0_358
.LBB0_332:                              ;   Parent Loop BB0_225 Depth=1
                                        ;     Parent Loop BB0_325 Depth=2
                                        ; =>    This Loop Header: Depth=3
                                        ;         Child Loop BB0_335 Depth 4
                                        ;         Child Loop BB0_339 Depth 4
                                        ;         Child Loop BB0_345 Depth 4
                                        ;         Child Loop BB0_349 Depth 4
                                        ;         Child Loop BB0_353 Depth 4
                                        ;         Child Loop BB0_357 Depth 4
	v_mov_b32_e32 v60, 1
	s_and_saveexec_b32 s72, s16
	s_cbranch_execz .LBB0_342
; %bb.333:                              ;   in Loop: Header=BB0_332 Depth=3
	v_dual_mov_b32 v0, 2 :: v_dual_mov_b32 v60, 1
	s_mov_b32 s61, -1
	s_and_saveexec_b32 s35, s44
	s_cbranch_execz .LBB0_337
; %bb.334:                              ;   in Loop: Header=BB0_332 Depth=3
	v_mov_b32_e32 v4, v97
	s_mov_b32 s60, 1
	s_mov_b32 s36, 3
	;; [unrolled: 1-line block ×7, first 2 shown]
.LBB0_335:                              ;   Parent Loop BB0_225 Depth=1
                                        ;     Parent Loop BB0_325 Depth=2
                                        ;       Parent Loop BB0_332 Depth=3
                                        ; =>      This Inner Loop Header: Depth=4
	v_add_nc_u32_e32 v4, -4, v4
	s_add_co_i32 s39, s38, 2
	s_add_co_i32 vcc_lo, s36, 2
	s_mul_i32 s61, s61, s36
	s_mul_i32 s60, s60, s38
	s_mul_i32 s63, s63, vcc_lo
	s_mul_i32 s62, s62, s39
	v_cmp_eq_u32_e32 vcc_lo, 0, v4
	v_mov_b64_e32 v[0:1], s[60:61]
	v_mov_b64_e32 v[2:3], s[62:63]
	s_add_co_i32 s38, s38, 4
	s_add_co_i32 s36, s36, 4
	s_or_b32 s37, vcc_lo, s37
	s_delay_alu instid0(SALU_CYCLE_1)
	s_and_not1_b32 exec_lo, exec_lo, s37
	s_cbranch_execnz .LBB0_335
; %bb.336:                              ;   in Loop: Header=BB0_332 Depth=3
	s_or_b32 exec_lo, exec_lo, s37
	v_mul_lo_u32 v1, v3, v1
	v_mul_lo_u32 v0, v2, v0
	s_or_not1_b32 s61, s45, exec_lo
	s_delay_alu instid0(VALU_DEP_1)
	v_mul_lo_u32 v60, v0, v1
	v_mov_b32_e32 v0, v100
.LBB0_337:                              ;   in Loop: Header=BB0_332 Depth=3
	s_or_b32 exec_lo, exec_lo, s35
	s_and_saveexec_b32 s60, s61
	s_cbranch_execz .LBB0_341
; %bb.338:                              ;   in Loop: Header=BB0_332 Depth=3
	s_mov_b32 s61, 0
.LBB0_339:                              ;   Parent Loop BB0_225 Depth=1
                                        ;     Parent Loop BB0_325 Depth=2
                                        ;       Parent Loop BB0_332 Depth=3
                                        ; =>      This Inner Loop Header: Depth=4
	s_delay_alu instid0(VALU_DEP_1) | instskip(SKIP_1) | instid1(VALU_DEP_1)
	v_mul_lo_u32 v60, v60, v0
	v_add_nc_u32_e32 v0, 1, v0
	v_cmp_eq_u32_e32 vcc_lo, v116, v0
	s_or_b32 s61, vcc_lo, s61
	s_delay_alu instid0(SALU_CYCLE_1)
	s_and_not1_b32 exec_lo, exec_lo, s61
	s_cbranch_execnz .LBB0_339
; %bb.340:                              ;   in Loop: Header=BB0_332 Depth=3
	s_or_b32 exec_lo, exec_lo, s61
.LBB0_341:                              ;   in Loop: Header=BB0_332 Depth=3
	s_delay_alu instid0(SALU_CYCLE_1)
	s_or_b32 exec_lo, exec_lo, s60
.LBB0_342:                              ;   in Loop: Header=BB0_332 Depth=3
	s_delay_alu instid0(SALU_CYCLE_1)
	s_or_b32 exec_lo, exec_lo, s72
	s_cmp_lt_u32 s34, 2
	s_mov_b32 s72, 1
	s_cbranch_scc1 .LBB0_350
; %bb.343:                              ;   in Loop: Header=BB0_332 Depth=3
	s_cmp_lt_u32 s34, 5
	s_cbranch_scc1 .LBB0_347
; %bb.344:                              ;   in Loop: Header=BB0_332 Depth=3
	s_and_b32 s61, s31, -4
	s_mov_b32 s60, 1
	s_mov_b32 s62, 3
	s_mov_b32 s72, 2
	s_mov_b32 vcc_lo, 1
	s_mov_b32 s63, 1
	s_mov_b32 s35, 1
.LBB0_345:                              ;   Parent Loop BB0_225 Depth=1
                                        ;     Parent Loop BB0_325 Depth=2
                                        ;       Parent Loop BB0_332 Depth=3
                                        ; =>      This Inner Loop Header: Depth=4
	s_add_co_i32 s36, s72, 2
	s_add_co_i32 s37, s62, 2
	s_add_co_i32 s61, s61, -4
	s_mul_i32 vcc_lo, vcc_lo, s62
	s_mul_i32 s60, s60, s72
	s_add_co_i32 s72, s72, 4
	s_add_co_i32 s62, s62, 4
	s_mul_i32 s35, s35, s37
	s_cmp_lg_u32 s61, 0
	s_mul_i32 s63, s63, s36
	s_cbranch_scc1 .LBB0_345
; %bb.346:                              ;   in Loop: Header=BB0_332 Depth=3
	s_add_co_i32 s62, s34, -1
	s_mul_i32 vcc_lo, s35, vcc_lo
	s_and_b32 s72, s62, -4
	s_mul_i32 s60, s63, s60
	s_or_b32 s61, s72, 2
	s_cmp_lg_u32 s62, s72
	s_mul_i32 s72, s60, vcc_lo
	s_cselect_b32 s60, -1, 0
	s_delay_alu instid0(SALU_CYCLE_1)
	s_and_b32 vcc_lo, exec_lo, s60
	s_cbranch_vccnz .LBB0_348
	s_branch .LBB0_350
.LBB0_347:                              ;   in Loop: Header=BB0_332 Depth=3
	s_mov_b32 s61, 2
	s_cbranch_execz .LBB0_350
.LBB0_348:                              ;   in Loop: Header=BB0_332 Depth=3
	s_add_co_i32 s60, s34, 1
.LBB0_349:                              ;   Parent Loop BB0_225 Depth=1
                                        ;     Parent Loop BB0_325 Depth=2
                                        ;       Parent Loop BB0_332 Depth=3
                                        ; =>      This Inner Loop Header: Depth=4
	s_mul_i32 s72, s72, s61
	s_add_co_i32 s61, s61, 1
	s_delay_alu instid0(SALU_CYCLE_1)
	s_cmp_lg_u32 s60, s61
	s_cbranch_scc1 .LBB0_349
.LBB0_350:                              ;   in Loop: Header=BB0_332 Depth=3
	v_subrev_nc_u32_e32 v4, s34, v25
	v_mov_b32_e32 v61, 1
	s_mov_b32 s35, exec_lo
	s_delay_alu instid0(VALU_DEP_2)
	v_cmpx_lt_i32_e32 1, v4
	s_cbranch_execz .LBB0_331
; %bb.351:                              ;   in Loop: Header=BB0_332 Depth=3
	v_subrev_nc_u32_e32 v5, s34, v86
	v_dual_mov_b32 v0, 2 :: v_dual_mov_b32 v61, 1
	s_mov_b32 s61, -1
	s_mov_b32 s36, exec_lo
	s_delay_alu instid0(VALU_DEP_2)
	v_cmpx_lt_u32_e32 3, v5
	s_cbranch_execz .LBB0_355
; %bb.352:                              ;   in Loop: Header=BB0_332 Depth=3
	v_and_b32_e32 v61, -4, v59
	s_mov_b32 s60, 1
	s_mov_b32 s37, 3
	;; [unrolled: 1-line block ×7, first 2 shown]
.LBB0_353:                              ;   Parent Loop BB0_225 Depth=1
                                        ;     Parent Loop BB0_325 Depth=2
                                        ;       Parent Loop BB0_332 Depth=3
                                        ; =>      This Inner Loop Header: Depth=4
	v_add_nc_u32_e32 v61, -4, v61
	s_add_co_i32 s48, s39, 2
	s_add_co_i32 vcc_lo, s37, 2
	s_mul_i32 s61, s61, s37
	s_mul_i32 s60, s60, s39
	s_mul_i32 s63, s63, vcc_lo
	s_mul_i32 s62, s62, s48
	v_cmp_eq_u32_e32 vcc_lo, 0, v61
	v_mov_b64_e32 v[0:1], s[60:61]
	v_mov_b64_e32 v[2:3], s[62:63]
	s_add_co_i32 s39, s39, 4
	s_add_co_i32 s37, s37, 4
	s_or_b32 s38, vcc_lo, s38
	s_delay_alu instid0(SALU_CYCLE_1)
	s_and_not1_b32 exec_lo, exec_lo, s38
	s_cbranch_execnz .LBB0_353
; %bb.354:                              ;   in Loop: Header=BB0_332 Depth=3
	s_or_b32 exec_lo, exec_lo, s38
	v_mul_lo_u32 v1, v3, v1
	v_mul_lo_u32 v0, v2, v0
	v_and_b32_e32 v2, -4, v5
	s_delay_alu instid0(VALU_DEP_1) | instskip(SKIP_1) | instid1(VALU_DEP_3)
	v_cmp_ne_u32_e32 vcc_lo, v5, v2
	s_or_not1_b32 s61, vcc_lo, exec_lo
	v_mul_lo_u32 v61, v0, v1
	v_or_b32_e32 v0, 2, v2
.LBB0_355:                              ;   in Loop: Header=BB0_332 Depth=3
	s_or_b32 exec_lo, exec_lo, s36
	s_and_saveexec_b32 s60, s61
	s_cbranch_execz .LBB0_330
; %bb.356:                              ;   in Loop: Header=BB0_332 Depth=3
	s_mov_b32 s61, 0
.LBB0_357:                              ;   Parent Loop BB0_225 Depth=1
                                        ;     Parent Loop BB0_325 Depth=2
                                        ;       Parent Loop BB0_332 Depth=3
                                        ; =>      This Inner Loop Header: Depth=4
	s_delay_alu instid0(VALU_DEP_2) | instskip(SKIP_1) | instid1(VALU_DEP_1)
	v_mul_lo_u32 v61, v61, v0
	v_add_nc_u32_e32 v0, 1, v0
	v_cmp_eq_u32_e32 vcc_lo, v58, v0
	s_or_b32 s61, vcc_lo, s61
	s_delay_alu instid0(SALU_CYCLE_1)
	s_and_not1_b32 exec_lo, exec_lo, s61
	s_cbranch_execnz .LBB0_357
	s_branch .LBB0_329
.LBB0_358:                              ;   in Loop: Header=BB0_325 Depth=2
	s_or_b32 exec_lo, exec_lo, s30
	s_delay_alu instid0(SALU_CYCLE_1)
	s_or_b32 exec_lo, exec_lo, vcc_hi
	v_mov_b32_e32 v4, 1
	s_and_saveexec_b32 s72, s18
	s_cbranch_execz .LBB0_327
.LBB0_359:                              ;   in Loop: Header=BB0_325 Depth=2
	v_dual_mov_b32 v0, 2 :: v_dual_mov_b32 v4, 1
	s_mov_b32 s61, -1
	s_and_saveexec_b32 vcc_hi, s46
	s_cbranch_execz .LBB0_363
; %bb.360:                              ;   in Loop: Header=BB0_325 Depth=2
	v_mov_b32_e32 v4, v99
	s_mov_b32 s60, 1
	s_mov_b32 s30, 3
	;; [unrolled: 1-line block ×7, first 2 shown]
.LBB0_361:                              ;   Parent Loop BB0_225 Depth=1
                                        ;     Parent Loop BB0_325 Depth=2
                                        ; =>    This Inner Loop Header: Depth=3
	v_add_nc_u32_e32 v4, -4, v4
	s_add_co_i32 s35, s34, 2
	s_add_co_i32 vcc_lo, s30, 2
	s_mul_i32 s61, s61, s30
	s_mul_i32 s60, s60, s34
	s_mul_i32 s63, s63, vcc_lo
	s_mul_i32 s62, s62, s35
	v_cmp_eq_u32_e32 vcc_lo, 0, v4
	v_mov_b64_e32 v[0:1], s[60:61]
	v_mov_b64_e32 v[2:3], s[62:63]
	s_add_co_i32 s34, s34, 4
	s_add_co_i32 s30, s30, 4
	s_or_b32 s31, vcc_lo, s31
	s_delay_alu instid0(SALU_CYCLE_1)
	s_and_not1_b32 exec_lo, exec_lo, s31
	s_cbranch_execnz .LBB0_361
; %bb.362:                              ;   in Loop: Header=BB0_325 Depth=2
	s_or_b32 exec_lo, exec_lo, s31
	v_mul_lo_u32 v1, v3, v1
	v_mul_lo_u32 v0, v2, v0
	s_or_not1_b32 s61, s47, exec_lo
	s_delay_alu instid0(VALU_DEP_1)
	v_mul_lo_u32 v4, v0, v1
	v_mov_b32_e32 v0, v102
.LBB0_363:                              ;   in Loop: Header=BB0_325 Depth=2
	s_or_b32 exec_lo, exec_lo, vcc_hi
	s_and_saveexec_b32 s60, s61
	s_cbranch_execz .LBB0_367
; %bb.364:                              ;   in Loop: Header=BB0_325 Depth=2
	s_mov_b32 s61, 0
.LBB0_365:                              ;   Parent Loop BB0_225 Depth=1
                                        ;     Parent Loop BB0_325 Depth=2
                                        ; =>    This Inner Loop Header: Depth=3
	s_delay_alu instid0(VALU_DEP_1) | instskip(SKIP_1) | instid1(VALU_DEP_1)
	v_mul_lo_u32 v4, v4, v0
	v_add_nc_u32_e32 v0, 1, v0
	v_cmp_eq_u32_e32 vcc_lo, v117, v0
	s_or_b32 s61, vcc_lo, s61
	s_delay_alu instid0(SALU_CYCLE_1)
	s_and_not1_b32 exec_lo, exec_lo, s61
	s_cbranch_execnz .LBB0_365
; %bb.366:                              ;   in Loop: Header=BB0_325 Depth=2
	s_or_b32 exec_lo, exec_lo, s61
.LBB0_367:                              ;   in Loop: Header=BB0_325 Depth=2
	s_delay_alu instid0(SALU_CYCLE_1) | instskip(NEXT) | instid1(SALU_CYCLE_1)
	s_or_b32 exec_lo, exec_lo, s60
	s_or_b32 exec_lo, exec_lo, s72
	s_cmp_lt_u32 s95, 2
	s_mov_b32 s72, 1
	s_cbranch_scc1 .LBB0_375
.LBB0_368:                              ;   in Loop: Header=BB0_325 Depth=2
	s_cmp_lt_u32 s95, 5
	s_cbranch_scc1 .LBB0_372
; %bb.369:                              ;   in Loop: Header=BB0_325 Depth=2
	s_and_b32 s61, s94, -4
	s_mov_b32 s60, 1
	s_mov_b32 s62, 3
	;; [unrolled: 1-line block ×3, first 2 shown]
	s_mov_b32 vcc_lo, 1
	s_mov_b32 s63, 1
	s_mov_b32 vcc_hi, 1
.LBB0_370:                              ;   Parent Loop BB0_225 Depth=1
                                        ;     Parent Loop BB0_325 Depth=2
                                        ; =>    This Inner Loop Header: Depth=3
	s_add_co_i32 s30, s72, 2
	s_add_co_i32 s31, s62, 2
	s_add_co_i32 s61, s61, -4
	s_mul_i32 vcc_lo, vcc_lo, s62
	s_mul_i32 s60, s60, s72
	s_add_co_i32 s72, s72, 4
	s_add_co_i32 s62, s62, 4
	s_mul_i32 vcc_hi, vcc_hi, s31
	s_cmp_lg_u32 s61, 0
	s_mul_i32 s63, s63, s30
	s_cbranch_scc1 .LBB0_370
; %bb.371:                              ;   in Loop: Header=BB0_325 Depth=2
	s_add_co_i32 s62, s95, -1
	s_mul_i32 vcc_lo, vcc_hi, vcc_lo
	s_and_b32 s72, s62, -4
	s_mul_i32 s60, s63, s60
	s_or_b32 s61, s72, 2
	s_cmp_lg_u32 s62, s72
	s_mul_i32 s72, s60, vcc_lo
	s_cselect_b32 s60, -1, 0
	s_delay_alu instid0(SALU_CYCLE_1)
	s_and_b32 vcc_lo, exec_lo, s60
	s_cbranch_vccnz .LBB0_373
	s_branch .LBB0_375
.LBB0_372:                              ;   in Loop: Header=BB0_325 Depth=2
	s_mov_b32 s61, 2
	s_cbranch_execz .LBB0_375
.LBB0_373:                              ;   in Loop: Header=BB0_325 Depth=2
	s_add_co_i32 s60, s95, 1
.LBB0_374:                              ;   Parent Loop BB0_225 Depth=1
                                        ;     Parent Loop BB0_325 Depth=2
                                        ; =>    This Inner Loop Header: Depth=3
	s_mul_i32 s72, s72, s61
	s_add_co_i32 s61, s61, 1
	s_delay_alu instid0(SALU_CYCLE_1)
	s_cmp_lg_u32 s60, s61
	s_cbranch_scc1 .LBB0_374
.LBB0_375:                              ;   in Loop: Header=BB0_325 Depth=2
	v_subrev_nc_u32_e32 v5, s95, v28
	v_mov_b32_e32 v1, 1
	s_mov_b32 vcc_hi, exec_lo
	s_delay_alu instid0(VALU_DEP_2)
	v_cmpx_lt_i32_e32 1, v5
	s_cbranch_execz .LBB0_324
; %bb.376:                              ;   in Loop: Header=BB0_325 Depth=2
	v_subrev_nc_u32_e32 v57, s95, v85
	v_dual_mov_b32 v0, 2 :: v_dual_mov_b32 v1, 1
	s_mov_b32 s61, -1
	s_mov_b32 s30, exec_lo
	s_delay_alu instid0(VALU_DEP_2)
	v_cmpx_lt_u32_e32 3, v57
	s_cbranch_execz .LBB0_380
; %bb.377:                              ;   in Loop: Header=BB0_325 Depth=2
	v_and_b32_e32 v58, -4, v47
	s_mov_b32 s60, 1
	s_mov_b32 s31, 3
	s_mov_b32 s35, 2
	s_mov_b32 s34, 0
	s_mov_b32 s61, s60
	s_mov_b32 s62, s60
	s_mov_b32 s63, s60
.LBB0_378:                              ;   Parent Loop BB0_225 Depth=1
                                        ;     Parent Loop BB0_325 Depth=2
                                        ; =>    This Inner Loop Header: Depth=3
	v_add_nc_u32_e32 v58, -4, v58
	s_add_co_i32 s36, s35, 2
	s_add_co_i32 vcc_lo, s31, 2
	s_mul_i32 s61, s61, s31
	s_mul_i32 s60, s60, s35
	s_mul_i32 s63, s63, vcc_lo
	s_mul_i32 s62, s62, s36
	v_cmp_eq_u32_e32 vcc_lo, 0, v58
	v_mov_b64_e32 v[0:1], s[60:61]
	v_mov_b64_e32 v[2:3], s[62:63]
	s_add_co_i32 s35, s35, 4
	s_add_co_i32 s31, s31, 4
	s_or_b32 s34, vcc_lo, s34
	s_delay_alu instid0(SALU_CYCLE_1)
	s_and_not1_b32 exec_lo, exec_lo, s34
	s_cbranch_execnz .LBB0_378
; %bb.379:                              ;   in Loop: Header=BB0_325 Depth=2
	s_or_b32 exec_lo, exec_lo, s34
	v_mul_lo_u32 v1, v3, v1
	v_mul_lo_u32 v0, v2, v0
	v_and_b32_e32 v2, -4, v57
	s_delay_alu instid0(VALU_DEP_1) | instskip(SKIP_1) | instid1(VALU_DEP_3)
	v_cmp_ne_u32_e32 vcc_lo, v57, v2
	s_or_not1_b32 s61, vcc_lo, exec_lo
	v_mul_lo_u32 v1, v0, v1
	v_or_b32_e32 v0, 2, v2
.LBB0_380:                              ;   in Loop: Header=BB0_325 Depth=2
	s_or_b32 exec_lo, exec_lo, s30
	s_and_saveexec_b32 s60, s61
	s_cbranch_execz .LBB0_323
; %bb.381:                              ;   in Loop: Header=BB0_325 Depth=2
	s_mov_b32 s61, 0
.LBB0_382:                              ;   Parent Loop BB0_225 Depth=1
                                        ;     Parent Loop BB0_325 Depth=2
                                        ; =>    This Inner Loop Header: Depth=3
	s_delay_alu instid0(VALU_DEP_2) | instskip(SKIP_1) | instid1(VALU_DEP_1)
	v_mul_lo_u32 v1, v1, v0
	v_add_nc_u32_e32 v0, 1, v0
	v_cmp_eq_u32_e32 vcc_lo, v46, v0
	s_or_b32 s61, vcc_lo, s61
	s_delay_alu instid0(SALU_CYCLE_1)
	s_and_not1_b32 exec_lo, exec_lo, s61
	s_cbranch_execnz .LBB0_382
; %bb.383:                              ;   in Loop: Header=BB0_325 Depth=2
	s_or_b32 exec_lo, exec_lo, s61
	s_branch .LBB0_323
.LBB0_384:                              ;   in Loop: Header=BB0_225 Depth=1
	s_or_b32 exec_lo, exec_lo, s93
.LBB0_385:                              ;   in Loop: Header=BB0_225 Depth=1
	s_delay_alu instid0(SALU_CYCLE_1) | instskip(SKIP_4) | instid1(VALU_DEP_1)
	s_or_b32 exec_lo, exec_lo, s92
	v_dual_mul_f32 v0, v37, v44 :: v_dual_mul_f32 v2, v82, v41
	scratch_store_b32 off, v36, s32 offset:176
	v_cvt_f64_f32_e32 v[0:1], v0
	v_cvt_f64_f32_e32 v[2:3], v2
	v_fmac_f64_e32 v[0:1], 2.0, v[2:3]
	s_delay_alu instid0(VALU_DEP_1)
	v_cvt_f32_f64_e32 v0, v[0:1]
	s_wait_xcnt 0x0
	s_and_saveexec_b32 s60, s20
	s_cbranch_execz .LBB0_387
; %bb.386:                              ;   in Loop: Header=BB0_225 Depth=1
	s_delay_alu instid0(VALU_DEP_1)
	v_mul_f32_e32 v1, v36, v0
	scratch_store_b32 off, v1, s32 offset:204
.LBB0_387:                              ;   in Loop: Header=BB0_225 Depth=1
	s_wait_xcnt 0x0
	s_or_b32 exec_lo, exec_lo, s60
	v_mul_f32_e32 v1, v67, v44
	v_mul_f32_e32 v4, v51, v41
	s_delay_alu instid0(VALU_DEP_2) | instskip(NEXT) | instid1(VALU_DEP_2)
	v_cvt_f64_f32_e32 v[2:3], v1
	v_cvt_f64_f32_e32 v[4:5], v4
	s_delay_alu instid0(VALU_DEP_1) | instskip(NEXT) | instid1(VALU_DEP_1)
	v_fmac_f64_e32 v[2:3], 2.0, v[4:5]
	v_cvt_f32_f64_e32 v2, v[2:3]
	s_and_saveexec_b32 s60, s21
	s_cbranch_execz .LBB0_389
; %bb.388:                              ;   in Loop: Header=BB0_225 Depth=1
	s_delay_alu instid0(VALU_DEP_1)
	v_mul_f32_e32 v1, v36, v2
	scratch_store_b32 off, v1, s32 offset:180
.LBB0_389:                              ;   in Loop: Header=BB0_225 Depth=1
	s_wait_xcnt 0x0
	s_or_b32 exec_lo, exec_lo, s60
	s_and_saveexec_b32 s60, s22
	s_cbranch_execz .LBB0_392
; %bb.390:                              ;   in Loop: Header=BB0_225 Depth=1
	scratch_load_b32 v1, off, s32 offset:204
	s_mov_b32 s61, 1
	s_mov_b32 s62, 0
	s_mov_b32 s63, s79
.LBB0_391:                              ;   Parent Loop BB0_225 Depth=1
                                        ; =>  This Inner Loop Header: Depth=2
	scratch_load_b32 v3, off, s63 offset:-56
	s_cvt_f32_i32 s72, s61
	s_add_co_i32 s61, s61, 1
	s_delay_alu instid0(SALU_CYCLE_1) | instskip(NEXT) | instid1(SALU_CYCLE_1)
	v_cmp_eq_u32_e32 vcc_lo, s61, v48
	v_mul_f32_e32 v4, s72, v43
	s_wait_loadcnt 0x0
	s_delay_alu instid0(VALU_DEP_1) | instskip(NEXT) | instid1(VALU_DEP_1)
	v_mul_f32_e32 v3, v3, v4
	v_fmac_f32_e32 v3, v1, v0
	s_delay_alu instid0(VALU_DEP_1) | instskip(SKIP_4) | instid1(SALU_CYCLE_1)
	v_mov_b32_e32 v1, v3
	scratch_store_b32 off, v3, s63
	s_wait_xcnt 0x0
	s_add_co_i32 s63, s63, 28
	s_or_b32 s62, vcc_lo, s62
	s_and_not1_b32 exec_lo, exec_lo, s62
	s_cbranch_execnz .LBB0_391
.LBB0_392:                              ;   in Loop: Header=BB0_225 Depth=1
	s_or_b32 exec_lo, exec_lo, s60
	s_and_saveexec_b32 s60, s23
	s_cbranch_execz .LBB0_395
; %bb.393:                              ;   in Loop: Header=BB0_225 Depth=1
	scratch_load_b32 v0, off, s32 offset:180
	s_mov_b32 s61, 1
	s_mov_b32 s62, 0
	;; [unrolled: 1-line block ×3, first 2 shown]
.LBB0_394:                              ;   Parent Loop BB0_225 Depth=1
                                        ; =>  This Inner Loop Header: Depth=2
	scratch_load_b32 v1, off, s63 offset:-8
	s_cvt_f32_i32 s72, s61
	s_add_co_i32 s61, s61, 1
	s_delay_alu instid0(SALU_CYCLE_1) | instskip(NEXT) | instid1(SALU_CYCLE_1)
	v_cmp_eq_u32_e32 vcc_lo, s61, v81
	v_mul_f32_e32 v3, s72, v42
	s_wait_loadcnt 0x0
	s_delay_alu instid0(VALU_DEP_1) | instskip(NEXT) | instid1(VALU_DEP_1)
	v_mul_f32_e32 v1, v1, v3
	v_fmac_f32_e32 v1, v0, v2
	s_delay_alu instid0(VALU_DEP_1) | instskip(SKIP_4) | instid1(SALU_CYCLE_1)
	v_mov_b32_e32 v0, v1
	scratch_store_b32 off, v1, s63
	s_wait_xcnt 0x0
	s_add_co_i32 s63, s63, 4
	s_or_b32 s62, vcc_lo, s62
	s_and_not1_b32 exec_lo, exec_lo, s62
	s_cbranch_execnz .LBB0_394
.LBB0_395:                              ;   in Loop: Header=BB0_225 Depth=1
	s_or_b32 exec_lo, exec_lo, s60
	s_and_saveexec_b32 s60, s78
	s_cbranch_execz .LBB0_401
; %bb.396:                              ;   in Loop: Header=BB0_225 Depth=1
	s_mov_b32 s63, 1
	s_mov_b32 s61, 0
	;; [unrolled: 1-line block ×3, first 2 shown]
	s_branch .LBB0_398
.LBB0_397:                              ;   in Loop: Header=BB0_398 Depth=2
	s_or_b32 exec_lo, exec_lo, s72
	v_cmp_eq_u32_e32 vcc_lo, s63, v48
	s_add_co_i32 s63, s63, 1
	s_add_co_i32 s62, s62, 28
	s_or_b32 s61, vcc_lo, s61
	s_delay_alu instid0(SALU_CYCLE_1)
	s_and_not1_b32 exec_lo, exec_lo, s61
	s_cbranch_execz .LBB0_401
.LBB0_398:                              ;   Parent Loop BB0_225 Depth=1
                                        ; =>  This Loop Header: Depth=2
                                        ;       Child Loop BB0_400 Depth 3
	s_mul_i32 s72, s63, 28
	s_delay_alu instid0(SALU_CYCLE_1) | instskip(NEXT) | instid1(SALU_CYCLE_1)
	s_add_co_i32 s92, s32, s72
	s_add_co_i32 s72, s92, 0xb0
	s_cvt_f32_u32 s92, s63
	s_clause 0x1
	scratch_load_b32 v1, off, s72
	scratch_load_b32 v4, off, s72 offset:-28
	s_wait_loadcnt 0x1
	v_dual_mul_f32 v0, s92, v41 :: v_dual_mul_f32 v3, v1, v2
	s_wait_loadcnt 0x0
	s_delay_alu instid0(VALU_DEP_1)
	v_fmac_f32_e32 v3, v4, v0
	scratch_store_b32 off, v3, s72 offset:4
	s_wait_xcnt 0x0
	s_and_saveexec_b32 s72, s23
	s_cbranch_execz .LBB0_397
; %bb.399:                              ;   in Loop: Header=BB0_398 Depth=2
	s_mov_b32 s92, 1
	s_mov_b32 s93, 0
	;; [unrolled: 1-line block ×3, first 2 shown]
.LBB0_400:                              ;   Parent Loop BB0_225 Depth=1
                                        ;     Parent Loop BB0_398 Depth=2
                                        ; =>    This Inner Loop Header: Depth=3
	s_clause 0x1
	scratch_load_b32 v5, off, s94
	scratch_load_b32 v4, off, s94 offset:-24
	s_cvt_f32_i32 s95, s92
	s_add_co_i32 s92, s92, 1
	s_delay_alu instid0(SALU_CYCLE_1) | instskip(NEXT) | instid1(SALU_CYCLE_1)
	v_cmp_eq_u32_e32 vcc_lo, s92, v81
	v_mul_f32_e32 v1, s95, v42
	s_wait_loadcnt 0x0
	s_delay_alu instid0(VALU_DEP_1) | instskip(NEXT) | instid1(VALU_DEP_1)
	v_pk_mul_f32 v[4:5], v[0:1], v[4:5]
	v_add_f32_e32 v1, v4, v5
	s_delay_alu instid0(VALU_DEP_1) | instskip(NEXT) | instid1(VALU_DEP_1)
	v_fmac_f32_e32 v1, v3, v2
	v_mov_b32_e32 v3, v1
	scratch_store_b32 off, v1, s94 offset:8
	s_wait_xcnt 0x0
	s_add_co_i32 s94, s94, 4
	s_or_b32 s93, vcc_lo, s93
	s_delay_alu instid0(SALU_CYCLE_1)
	s_and_not1_b32 exec_lo, exec_lo, s93
	s_cbranch_execnz .LBB0_400
	s_branch .LBB0_397
.LBB0_401:                              ;   in Loop: Header=BB0_225 Depth=1
	s_or_b32 exec_lo, exec_lo, s60
	v_mov_b32_e32 v41, 0
	s_and_saveexec_b32 s92, s24
	s_cbranch_execz .LBB0_224
; %bb.402:                              ;   in Loop: Header=BB0_225 Depth=1
	v_dual_mov_b32 v41, 0 :: v_dual_mov_b32 v42, v119
	v_mov_b32_e32 v43, v39
	s_mov_b32 s94, -1
	s_mov_b32 s93, 0
	s_mov_b32 s95, 0
	s_branch .LBB0_405
.LBB0_403:                              ;   in Loop: Header=BB0_405 Depth=2
	s_or_b32 exec_lo, exec_lo, s60
.LBB0_404:                              ;   in Loop: Header=BB0_405 Depth=2
	s_delay_alu instid0(SALU_CYCLE_1) | instskip(SKIP_1) | instid1(VALU_DEP_3)
	s_or_b32 exec_lo, exec_lo, vcc_hi
	v_cvt_f32_i32_e32 v0, v5
	v_mul_lo_u32 v1, v1, s72
	s_add_co_i32 s94, s94, 1
	v_dual_add_nc_u32 v43, -1, v43 :: v_dual_add_nc_u32 v42, -1, v42
	s_delay_alu instid0(VALU_DEP_3) | instskip(NEXT) | instid1(VALU_DEP_1)
	v_cndmask_b32_e64 v2, v0, 1.0, s29
	v_cmp_neq_f32_e32 vcc_lo, 0, v2
	v_cndmask_b32_e32 v0, 1.0, v53, vcc_lo
	s_delay_alu instid0(VALU_DEP_1) | instskip(NEXT) | instid1(VALU_DEP_1)
	v_frexp_mant_f32_e64 v3, |v0|
	v_cmp_gt_f32_e32 vcc_lo, 0x3f2aaaab, v3
	v_cndmask_b32_e64 v5, 1.0, 2.0, vcc_lo
	s_delay_alu instid0(VALU_DEP_1) | instskip(NEXT) | instid1(VALU_DEP_1)
	v_mul_f32_e32 v3, v3, v5
	v_add_f32_e32 v5, 1.0, v3
	v_cmp_eq_f32_e64 s61, 0, v0
	s_delay_alu instid0(VALU_DEP_2)
	v_rcp_f32_e32 v60, v5
	v_dual_add_f32 v46, -1.0, v5 :: v_dual_add_f32 v47, -1.0, v3
	s_delay_alu instid0(TRANS32_DEP_1) | instid1(VALU_DEP_1)
	v_mul_f32_e32 v61, v47, v60
	s_delay_alu instid0(VALU_DEP_1) | instskip(NEXT) | instid1(VALU_DEP_1)
	v_dual_mul_f32 v56, v5, v61 :: v_dual_sub_f32 v3, v3, v46
	v_fma_f32 v58, v61, v5, -v56
	s_delay_alu instid0(VALU_DEP_1) | instskip(NEXT) | instid1(VALU_DEP_1)
	v_fmac_f32_e32 v58, v61, v3
	v_add_f32_e32 v46, v56, v58
	s_delay_alu instid0(VALU_DEP_1) | instskip(NEXT) | instid1(VALU_DEP_1)
	v_dual_sub_f32 v57, v47, v46 :: v_dual_mov_b32 v59, v46
	v_pk_add_f32 v[46:47], v[46:47], v[56:57] neg_lo:[0,1] neg_hi:[0,1]
	s_delay_alu instid0(VALU_DEP_1) | instskip(SKIP_1) | instid1(VALU_DEP_2)
	v_pk_add_f32 v[46:47], v[46:47], v[58:59] neg_lo:[0,1] neg_hi:[0,1]
	v_cvt_f64_f32_e64 v[58:59], |v0|
	v_add_f32_e32 v3, v46, v47
	s_delay_alu instid0(VALU_DEP_1) | instskip(NEXT) | instid1(VALU_DEP_1)
	v_add_f32_e32 v3, v57, v3
	v_mul_f32_e32 v3, v60, v3
	s_delay_alu instid0(VALU_DEP_1) | instskip(NEXT) | instid1(VALU_DEP_1)
	v_add_f32_e32 v46, v61, v3
	v_dual_sub_f32 v5, v46, v61 :: v_dual_mul_f32 v47, v46, v46
	s_delay_alu instid0(VALU_DEP_1) | instskip(SKIP_1) | instid1(VALU_DEP_2)
	v_dual_sub_f32 v3, v3, v5 :: v_dual_fma_f32 v5, v46, v46, -v47
	v_frexp_exp_i32_f64_e32 v72, v[58:59]
	v_add_f32_e32 v56, v3, v3
	s_delay_alu instid0(VALU_DEP_1) | instskip(NEXT) | instid1(VALU_DEP_1)
	v_fmac_f32_e32 v5, v46, v56
	v_add_f32_e32 v56, v47, v5
	s_delay_alu instid0(VALU_DEP_1) | instskip(NEXT) | instid1(VALU_DEP_1)
	v_sub_f32_e32 v47, v56, v47
	v_sub_f32_e32 v5, v5, v47
	v_fmaak_f32 v57, s89, v56, 0x3e91f4c4
	s_delay_alu instid0(VALU_DEP_1) | instskip(NEXT) | instid1(VALU_DEP_1)
	v_fmaak_f32 v57, v56, v57, 0x3ecccdef
	v_mul_f32_e32 v60, v56, v57
	s_delay_alu instid0(VALU_DEP_1) | instskip(NEXT) | instid1(VALU_DEP_1)
	v_fma_f32 v47, v56, v57, -v60
	v_fmac_f32_e32 v47, v5, v57
	s_delay_alu instid0(VALU_DEP_1) | instskip(NEXT) | instid1(VALU_DEP_1)
	v_add_f32_e32 v57, v60, v47
	v_sub_f32_e32 v60, v57, v60
	s_delay_alu instid0(VALU_DEP_1) | instskip(SKIP_1) | instid1(VALU_DEP_2)
	v_sub_f32_e32 v47, v47, v60
	v_add_f32_e32 v61, 0x3f2aaaaa, v57
	v_add_f32_e32 v47, 0x31739010, v47
	s_delay_alu instid0(VALU_DEP_2) | instskip(NEXT) | instid1(VALU_DEP_1)
	v_add_f32_e32 v60, 0xbf2aaaaa, v61
	v_sub_f32_e32 v57, v57, v60
	s_delay_alu instid0(VALU_DEP_1) | instskip(NEXT) | instid1(VALU_DEP_1)
	v_pk_mul_f32 v[58:59], v[46:47], v[56:57]
	v_fma_f32 v60, v56, v46, -v58
	v_pk_add_f32 v[62:63], v[46:47], v[56:57]
	s_delay_alu instid0(VALU_DEP_1) | instskip(SKIP_1) | instid1(VALU_DEP_2)
	v_dual_fmac_f32 v60, v56, v3 :: v_dual_mov_b32 v59, v63
	v_ldexp_f32 v3, v3, 1
	v_fmac_f32_e32 v60, v5, v46
	v_subrev_co_ci_u32_e64 v5, null, 0, v72, vcc_lo
	s_delay_alu instid0(VALU_DEP_2) | instskip(NEXT) | instid1(VALU_DEP_2)
	v_pk_add_f32 v[56:57], v[58:59], v[60:61]
	v_cvt_f32_i32_e32 v5, v5
	s_delay_alu instid0(VALU_DEP_2) | instskip(NEXT) | instid1(VALU_DEP_3)
	v_mov_b32_e32 v62, v57
	v_dual_sub_f32 v47, v61, v57 :: v_dual_sub_f32 v59, v56, v58
	s_delay_alu instid0(VALU_DEP_2) | instskip(NEXT) | instid1(VALU_DEP_2)
	v_pk_mul_f32 v[72:73], v[56:57], v[62:63]
	v_dual_add_f32 v47, v63, v47 :: v_dual_mul_f32 v62, 0x3f317218, v5
	s_delay_alu instid0(VALU_DEP_3) | instskip(NEXT) | instid1(VALU_DEP_3)
	v_sub_f32_e32 v59, v60, v59
	v_fma_f32 v58, v56, v57, -v72
	s_delay_alu instid0(VALU_DEP_1) | instskip(NEXT) | instid1(VALU_DEP_4)
	v_fmac_f32_e32 v58, v56, v47
	v_fma_f32 v56, 0x3f317218, v5, -v62
	s_delay_alu instid0(VALU_DEP_2) | instskip(NEXT) | instid1(VALU_DEP_2)
	v_fmac_f32_e32 v58, v59, v57
	v_fmac_f32_e32 v56, 0xb102e308, v5
	v_ldexp_f32 v57, v46, 1
	s_delay_alu instid0(VALU_DEP_3) | instskip(NEXT) | instid1(VALU_DEP_2)
	v_dual_sub_nc_u32 v5, 0, v1 :: v_dual_add_f32 v63, v72, v58
	v_mov_b32_e32 v73, v57
	s_delay_alu instid0(VALU_DEP_2) | instskip(SKIP_1) | instid1(VALU_DEP_4)
	v_max_i32_e32 v5, v1, v5
	v_xor_b32_e32 v1, v4, v1
	v_pk_add_f32 v[46:47], v[62:63], v[56:57]
	v_dual_mov_b32 v60, v63 :: v_dual_mov_b32 v59, v63
	s_delay_alu instid0(VALU_DEP_2) | instskip(SKIP_1) | instid1(VALU_DEP_2)
	v_dual_mov_b32 v57, v46 :: v_dual_mov_b32 v61, v47
	v_mov_b32_e32 v76, v47
	v_pk_add_f32 v[60:61], v[60:61], v[72:73] neg_lo:[0,1] neg_hi:[0,1]
	s_delay_alu instid0(VALU_DEP_1) | instskip(NEXT) | instid1(VALU_DEP_1)
	v_pk_add_f32 v[58:59], v[58:59], v[60:61] neg_lo:[0,1] neg_hi:[0,1]
	v_add_f32_e32 v3, v3, v58
	s_delay_alu instid0(VALU_DEP_1) | instskip(NEXT) | instid1(VALU_DEP_1)
	v_add_f32_e32 v63, v3, v59
	v_pk_add_f32 v[58:59], v[46:47], v[62:63]
	v_pk_add_f32 v[60:61], v[46:47], v[62:63] neg_lo:[0,1] neg_hi:[0,1]
	s_delay_alu instid0(VALU_DEP_2) | instskip(NEXT) | instid1(VALU_DEP_1)
	v_mov_b32_e32 v61, v59
	v_pk_add_f32 v[72:73], v[56:57], v[60:61]
	v_mov_b32_e32 v72, v59
	v_pk_add_f32 v[56:57], v[56:57], v[60:61] neg_lo:[0,1] neg_hi:[0,1]
	s_delay_alu instid0(VALU_DEP_3) | instskip(NEXT) | instid1(VALU_DEP_1)
	v_mov_b32_e32 v62, v73
	v_pk_add_f32 v[74:75], v[62:63], v[46:47] neg_lo:[0,1] neg_hi:[0,1]
	s_delay_alu instid0(VALU_DEP_1) | instskip(SKIP_1) | instid1(VALU_DEP_2)
	v_dual_mov_b32 v47, v46 :: v_dual_mov_b32 v77, v74
	v_dual_mov_b32 v46, v63 :: v_dual_mov_b32 v3, v74
	v_pk_add_f32 v[60:61], v[72:73], v[76:77] neg_lo:[0,1] neg_hi:[0,1]
	s_delay_alu instid0(VALU_DEP_2) | instskip(SKIP_1) | instid1(VALU_DEP_3)
	v_pk_add_f32 v[58:59], v[58:59], v[2:3] neg_lo:[0,1] neg_hi:[0,1]
	v_mov_b32_e32 v58, v56
	v_pk_add_f32 v[46:47], v[46:47], v[60:61] neg_lo:[0,1] neg_hi:[0,1]
	s_delay_alu instid0(VALU_DEP_1) | instskip(NEXT) | instid1(VALU_DEP_1)
	v_pk_add_f32 v[58:59], v[58:59], v[46:47]
	v_mov_b32_e32 v60, v59
	s_delay_alu instid0(VALU_DEP_1) | instskip(NEXT) | instid1(VALU_DEP_1)
	v_pk_add_f32 v[60:61], v[58:59], v[60:61]
	v_pk_add_f32 v[62:63], v[62:63], v[60:61]
	s_delay_alu instid0(VALU_DEP_1) | instskip(NEXT) | instid1(VALU_DEP_1)
	v_dual_mov_b32 v57, v73 :: v_dual_mov_b32 v59, v62
	v_pk_add_f32 v[72:73], v[58:59], v[56:57] neg_lo:[0,1] neg_hi:[0,1]
	v_mov_b32_e32 v47, v60
	v_cvt_f32_u32_e32 v57, v5
	s_delay_alu instid0(VALU_DEP_3) | instskip(NEXT) | instid1(VALU_DEP_3)
	v_sub_f32_e32 v3, v58, v72
	v_pk_add_f32 v[46:47], v[46:47], v[72:73] neg_lo:[0,1] neg_hi:[0,1]
	s_delay_alu instid0(VALU_DEP_2) | instskip(NEXT) | instid1(VALU_DEP_1)
	v_sub_f32_e32 v3, v56, v3
	v_add_f32_e32 v3, v46, v3
	s_delay_alu instid0(VALU_DEP_1) | instskip(NEXT) | instid1(VALU_DEP_1)
	v_add_f32_e32 v3, v3, v47
	v_add_f32_e32 v46, v62, v3
	s_delay_alu instid0(VALU_DEP_1) | instskip(NEXT) | instid1(VALU_DEP_1)
	v_sub_f32_e32 v47, v46, v62
	v_sub_f32_e32 v3, v3, v47
	v_rcp_iflag_f32_e32 v47, v57
	v_dual_mul_f32 v56, v2, v46 :: v_dual_sub_nc_u32 v57, 0, v5
	s_delay_alu instid0(VALU_DEP_1) | instskip(NEXT) | instid1(VALU_DEP_1)
	v_fma_f32 v46, v2, v46, -v56
	v_fmac_f32_e32 v46, v2, v3
	v_cmp_class_f32_e64 vcc_lo, v56, 0x204
	s_delay_alu instid0(TRANS32_DEP_1) | instskip(NEXT) | instid1(VALU_DEP_3)
	v_mul_f32_e32 v3, 0x4f7ffffe, v47
	v_add_f32_e32 v47, v56, v46
	s_delay_alu instid0(VALU_DEP_1) | instskip(NEXT) | instid1(VALU_DEP_3)
	v_cndmask_b32_e32 v58, v47, v56, vcc_lo
	v_cvt_u32_f32_e32 v3, v3
	s_delay_alu instid0(VALU_DEP_2) | instskip(NEXT) | instid1(VALU_DEP_2)
	v_cmp_eq_f32_e32 vcc_lo, 0x42b17218, v58
	v_mul_lo_u32 v57, v57, v3
	v_cmp_neq_f32_e64 s62, 0x7f800000, |v58|
	v_cndmask_b32_e64 v59, 0, 0x37000000, vcc_lo
	v_cmp_gt_f32_e32 vcc_lo, 0, v2
	s_delay_alu instid0(VALU_DEP_2) | instskip(SKIP_1) | instid1(VALU_DEP_1)
	v_dual_sub_f32 v60, v58, v59 :: v_dual_sub_f32 v47, v47, v56
	v_mul_hi_u32 v57, v3, v57
	v_dual_sub_nc_u32 v62, 0, v4 :: v_dual_add_nc_u32 v3, v3, v57
	s_delay_alu instid0(VALU_DEP_1) | instskip(NEXT) | instid1(VALU_DEP_1)
	v_dual_mul_f32 v61, 0x3fb8aa3b, v60 :: v_dual_max_i32 v62, v4, v62
	v_fma_f32 v63, 0x3fb8aa3b, v60, -v61
	v_rndne_f32_e32 v72, v61
	s_delay_alu instid0(VALU_DEP_3) | instskip(NEXT) | instid1(VALU_DEP_3)
	v_mul_hi_u32 v3, v62, v3
	v_fmac_f32_e32 v63, 0x32a5705f, v60
	s_delay_alu instid0(VALU_DEP_3) | instskip(SKIP_2) | instid1(VALU_DEP_3)
	v_sub_f32_e32 v57, v61, v72
	v_trunc_f32_e32 v61, v2
	v_cvt_i32_f32_e32 v4, v72
	v_dual_add_f32 v57, v57, v63 :: v_dual_mul_f32 v63, 0.5, v2
	s_delay_alu instid0(VALU_DEP_3) | instskip(SKIP_2) | instid1(VALU_DEP_4)
	v_cmp_eq_f32_e64 s60, v61, v2
	v_sub_f32_e32 v2, v46, v47
	v_add_nc_u32_e32 v47, 1, v3
	v_exp_f32_e32 v56, v57
	v_nop
	v_mul_lo_u32 v57, v3, v5
	v_trunc_f32_e32 v46, v63
	v_cndmask_b32_e64 v2, 0, v2, s62
	v_cmp_ngt_f32_e64 s62, 0xc2ce8ed0, v60
	s_delay_alu instid0(TRANS32_DEP_1) | instskip(NEXT) | instid1(VALU_DEP_3)
	v_ldexp_f32 v4, v56, v4
	v_dual_add_f32 v2, v59, v2 :: v_dual_sub_nc_u32 v56, v62, v57
	s_delay_alu instid0(VALU_DEP_2) | instskip(SKIP_1) | instid1(VALU_DEP_3)
	v_cndmask_b32_e64 v4, 0, v4, s62
	v_cmp_nlt_f32_e64 s62, 0x42b17218, v60
	v_cmp_ge_u32_e64 s63, v56, v5
	v_ashrrev_i32_e32 v1, 31, v1
	s_delay_alu instid0(VALU_DEP_3) | instskip(SKIP_1) | instid1(VALU_DEP_4)
	v_cndmask_b32_e64 v4, 0x7f800000, v4, s62
	v_cmp_neq_f32_e64 s62, v46, v63
	v_cndmask_b32_e64 v3, v3, v47, s63
	s_delay_alu instid0(VALU_DEP_3) | instskip(SKIP_1) | instid1(SALU_CYCLE_1)
	v_cmp_class_f32_e64 s72, v4, 0x204
	s_and_b32 s62, s60, s62
	v_dual_fma_f32 v2, v4, v2, v4 :: v_dual_cndmask_b32 v47, 1.0, v0, s62
	s_delay_alu instid0(VALU_DEP_1) | instskip(NEXT) | instid1(VALU_DEP_1)
	v_dual_sub_nc_u32 v46, v56, v5 :: v_dual_cndmask_b32 v2, v2, v4, s72
	v_dual_cndmask_b32 v4, v56, v46, s63 :: v_dual_add_nc_u32 v46, 1, v3
	s_xor_b32 s63, vcc_lo, s61
	s_delay_alu instid0(VALU_DEP_2) | instskip(SKIP_1) | instid1(VALU_DEP_3)
	v_bfi_b32 v2, 0x7fffffff, v2, v47
	v_cndmask_b32_e64 v56, 0x7f800000, 0, s63
	v_cmp_ge_u32_e32 vcc_lo, v4, v5
	v_cndmask_b32_e64 v47, 0, v0, s62
	s_delay_alu instid0(VALU_DEP_4) | instskip(SKIP_4) | instid1(VALU_DEP_3)
	v_cndmask_b32_e64 v4, 0x7fc00000, v2, s60
	v_cmp_class_f32_e64 s60, v0, 0x204
	v_cndmask_b32_e32 v3, v3, v46, vcc_lo
	v_cmp_gt_f32_e32 vcc_lo, 0, v0
	v_bfi_b32 v5, 0x7fffffff, v56, v47
	v_dual_cndmask_b32 v2, v2, v4, vcc_lo :: v_dual_bitop2_b32 v3, v3, v1 bitop3:0x14
	s_or_b32 vcc_lo, s61, s60
	s_add_co_i32 s60, s95, 1
	s_delay_alu instid0(VALU_DEP_1) | instskip(SKIP_1) | instid1(VALU_DEP_2)
	v_cndmask_b32_e32 v2, v2, v5, vcc_lo
	v_cmp_o_f32_e32 vcc_lo, v0, v0
	v_dual_cndmask_b32 v0, 0x7fc00000, v2 :: v_dual_sub_nc_u32 v1, v3, v1
	s_delay_alu instid0(VALU_DEP_1) | instskip(SKIP_2) | instid1(VALU_DEP_2)
	v_cvt_f32_i32_e32 v1, v1
	v_cmp_eq_u32_e32 vcc_lo, s95, v29
	s_mov_b32 s95, s60
	v_mul_f32_e32 v0, v0, v1
	s_or_b32 s93, vcc_lo, s93
	s_delay_alu instid0(VALU_DEP_1)
	v_fmac_f32_e32 v41, v44, v0
	s_and_not1_b32 exec_lo, exec_lo, s93
	s_cbranch_execz .LBB0_223
.LBB0_405:                              ;   Parent Loop BB0_225 Depth=1
                                        ; =>  This Loop Header: Depth=2
                                        ;       Child Loop BB0_412 Depth 3
                                        ;         Child Loop BB0_415 Depth 4
                                        ;         Child Loop BB0_419 Depth 4
	;; [unrolled: 1-line block ×6, first 2 shown]
                                        ;       Child Loop BB0_441 Depth 3
                                        ;       Child Loop BB0_445 Depth 3
	;; [unrolled: 1-line block ×6, first 2 shown]
	v_mov_b32_e32 v44, 0
	s_and_saveexec_b32 vcc_hi, s25
	s_cbranch_execnz .LBB0_408
; %bb.406:                              ;   in Loop: Header=BB0_405 Depth=2
	s_or_b32 exec_lo, exec_lo, vcc_hi
	v_mov_b32_e32 v4, 1
	s_and_saveexec_b32 s72, s28
	s_cbranch_execnz .LBB0_439
.LBB0_407:                              ;   in Loop: Header=BB0_405 Depth=2
	s_or_b32 exec_lo, exec_lo, s72
	s_cmp_lt_u32 s95, 2
	s_mov_b32 s72, 1
	s_cbranch_scc0 .LBB0_448
	s_branch .LBB0_455
.LBB0_408:                              ;   in Loop: Header=BB0_405 Depth=2
	v_lshl_add_u32 v46, s95, 2, v34
	v_dual_mov_b32 v44, 0 :: v_dual_mov_b32 v47, v118
	v_mov_b32_e32 v56, v66
	s_mov_b32 s31, -1
	s_mov_b32 s30, 0
	s_mov_b32 s34, 0
	s_branch .LBB0_412
.LBB0_409:                              ;   in Loop: Header=BB0_412 Depth=3
	s_or_b32 exec_lo, exec_lo, s61
.LBB0_410:                              ;   in Loop: Header=BB0_412 Depth=3
	s_delay_alu instid0(SALU_CYCLE_1)
	s_or_b32 exec_lo, exec_lo, s60
.LBB0_411:                              ;   in Loop: Header=BB0_412 Depth=3
	s_delay_alu instid0(SALU_CYCLE_1)
	s_or_b32 exec_lo, exec_lo, s35
	v_cvt_f32_i32_e32 v0, v4
	s_mul_i32 s60, s34, 28
	s_add_co_i32 s31, s31, 1
	scratch_load_b32 v88, v46, s60
	v_add_nc_u32_e32 v56, -1, v56
	v_cndmask_b32_e64 v60, v0, 1.0, s27
	v_add_nc_u32_e32 v47, -1, v47
	s_delay_alu instid0(VALU_DEP_2) | instskip(SKIP_1) | instid1(VALU_DEP_1)
	v_cmp_neq_f32_e32 vcc_lo, 0, v60
	v_cndmask_b32_e32 v59, 1.0, v21, vcc_lo
	v_frexp_mant_f32_e64 v0, |v59|
	s_delay_alu instid0(VALU_DEP_1) | instskip(SKIP_1) | instid1(VALU_DEP_1)
	v_cmp_gt_f32_e32 vcc_lo, 0x3f2aaaab, v0
	v_cndmask_b32_e64 v1, 1.0, 2.0, vcc_lo
	v_mul_f32_e32 v0, v0, v1
	s_delay_alu instid0(VALU_DEP_1) | instskip(SKIP_1) | instid1(VALU_DEP_2)
	v_add_f32_e32 v3, 1.0, v0
	v_cmp_eq_f32_e64 s61, 0, v59
	v_rcp_f32_e32 v61, v3
	v_dual_add_f32 v4, -1.0, v3 :: v_dual_add_f32 v1, -1.0, v0
	s_delay_alu instid0(TRANS32_DEP_1) | instid1(VALU_DEP_1)
	v_dual_sub_f32 v0, v0, v4 :: v_dual_mul_f32 v62, v1, v61
	s_delay_alu instid0(VALU_DEP_1) | instskip(NEXT) | instid1(VALU_DEP_1)
	v_mul_f32_e32 v2, v3, v62
	v_fma_f32 v4, v62, v3, -v2
	s_delay_alu instid0(VALU_DEP_1) | instskip(NEXT) | instid1(VALU_DEP_1)
	v_fmac_f32_e32 v4, v62, v0
	v_add_f32_e32 v0, v2, v4
	s_delay_alu instid0(VALU_DEP_1) | instskip(NEXT) | instid1(VALU_DEP_1)
	v_dual_sub_f32 v3, v1, v0 :: v_dual_mov_b32 v5, v0
	v_pk_add_f32 v[0:1], v[0:1], v[2:3] neg_lo:[0,1] neg_hi:[0,1]
	s_delay_alu instid0(VALU_DEP_1) | instskip(NEXT) | instid1(VALU_DEP_1)
	v_pk_add_f32 v[0:1], v[0:1], v[4:5] neg_lo:[0,1] neg_hi:[0,1]
	v_add_f32_e32 v0, v0, v1
	s_delay_alu instid0(VALU_DEP_1) | instskip(NEXT) | instid1(VALU_DEP_1)
	v_add_f32_e32 v0, v3, v0
	v_mul_f32_e32 v1, v61, v0
	s_delay_alu instid0(VALU_DEP_1) | instskip(NEXT) | instid1(VALU_DEP_1)
	v_add_f32_e32 v0, v62, v1
	v_sub_f32_e32 v2, v0, v62
	s_delay_alu instid0(VALU_DEP_1) | instskip(NEXT) | instid1(VALU_DEP_1)
	v_sub_f32_e32 v61, v1, v2
	v_dual_add_f32 v2, v61, v61 :: v_dual_mul_f32 v3, v0, v0
	s_delay_alu instid0(VALU_DEP_1) | instskip(NEXT) | instid1(VALU_DEP_1)
	v_fma_f32 v1, v0, v0, -v3
	v_fmac_f32_e32 v1, v0, v2
	s_delay_alu instid0(VALU_DEP_1) | instskip(NEXT) | instid1(VALU_DEP_1)
	v_add_f32_e32 v2, v3, v1
	v_dual_fmaak_f32 v4, s89, v2, 0x3e91f4c4 :: v_dual_sub_f32 v3, v2, v3
	s_delay_alu instid0(VALU_DEP_1) | instskip(SKIP_1) | instid1(VALU_DEP_2)
	v_fmaak_f32 v62, v2, v4, 0x3ecccdef
	v_cvt_f64_f32_e64 v[4:5], |v59|
	v_dual_sub_f32 v74, v1, v3 :: v_dual_mul_f32 v63, v2, v62
	s_delay_alu instid0(VALU_DEP_1) | instskip(NEXT) | instid1(VALU_DEP_1)
	v_fma_f32 v1, v2, v62, -v63
	v_fmac_f32_e32 v1, v74, v62
	s_delay_alu instid0(VALU_DEP_1) | instskip(NEXT) | instid1(VALU_DEP_1)
	v_add_f32_e32 v3, v63, v1
	v_sub_f32_e32 v62, v3, v63
	v_add_f32_e32 v63, 0x3f2aaaaa, v3
	s_delay_alu instid0(VALU_DEP_1) | instskip(SKIP_1) | instid1(VALU_DEP_2)
	v_dual_sub_f32 v1, v1, v62 :: v_dual_add_f32 v62, 0xbf2aaaaa, v63
	v_frexp_exp_i32_f64_e32 v75, v[4:5]
	v_add_f32_e32 v1, 0x31739010, v1
	s_delay_alu instid0(VALU_DEP_3) | instskip(NEXT) | instid1(VALU_DEP_1)
	v_sub_f32_e32 v3, v3, v62
	v_pk_mul_f32 v[4:5], v[0:1], v[2:3]
	s_delay_alu instid0(VALU_DEP_1) | instskip(NEXT) | instid1(VALU_DEP_1)
	v_fma_f32 v62, v2, v0, -v4
	v_fmac_f32_e32 v62, v2, v61
	s_delay_alu instid0(VALU_DEP_1) | instskip(SKIP_1) | instid1(VALU_DEP_1)
	v_fmac_f32_e32 v62, v74, v0
	v_pk_add_f32 v[72:73], v[0:1], v[2:3]
	v_mov_b32_e32 v5, v73
	v_subrev_co_ci_u32_e64 v1, null, 0, v75, vcc_lo
	s_delay_alu instid0(VALU_DEP_2) | instskip(NEXT) | instid1(VALU_DEP_2)
	v_pk_add_f32 v[2:3], v[4:5], v[62:63]
	v_cvt_f32_i32_e32 v1, v1
	s_delay_alu instid0(VALU_DEP_2) | instskip(NEXT) | instid1(VALU_DEP_3)
	v_mov_b32_e32 v72, v3
	v_dual_sub_f32 v5, v63, v3 :: v_dual_sub_f32 v63, v2, v4
	s_delay_alu instid0(VALU_DEP_2) | instskip(NEXT) | instid1(VALU_DEP_2)
	v_pk_mul_f32 v[74:75], v[2:3], v[72:73]
	v_sub_f32_e32 v62, v62, v63
	s_delay_alu instid0(VALU_DEP_2) | instskip(NEXT) | instid1(VALU_DEP_1)
	v_dual_fma_f32 v4, v2, v3, -v74 :: v_dual_add_f32 v5, v73, v5
	v_fmac_f32_e32 v4, v2, v5
	s_delay_alu instid0(VALU_DEP_1) | instskip(SKIP_2) | instid1(VALU_DEP_3)
	v_fmac_f32_e32 v4, v62, v3
	v_mul_f32_e32 v72, 0x3f317218, v1
	v_ldexp_f32 v3, v0, 1
	v_add_f32_e32 v73, v74, v4
	s_delay_alu instid0(VALU_DEP_3) | instskip(NEXT) | instid1(VALU_DEP_2)
	v_fma_f32 v2, 0x3f317218, v1, -v72
	v_dual_mov_b32 v75, v3 :: v_dual_mov_b32 v62, v73
	s_delay_alu instid0(VALU_DEP_2) | instskip(NEXT) | instid1(VALU_DEP_1)
	v_fmac_f32_e32 v2, 0xb102e308, v1
	v_pk_add_f32 v[0:1], v[72:73], v[2:3]
	v_ldexp_f32 v3, v61, 1
	s_delay_alu instid0(VALU_DEP_2) | instskip(NEXT) | instid1(VALU_DEP_1)
	v_dual_mov_b32 v5, v73 :: v_dual_mov_b32 v63, v1
	v_pk_add_f32 v[62:63], v[62:63], v[74:75] neg_lo:[0,1] neg_hi:[0,1]
	s_delay_alu instid0(VALU_DEP_1) | instskip(NEXT) | instid1(VALU_DEP_1)
	v_pk_add_f32 v[4:5], v[4:5], v[62:63] neg_lo:[0,1] neg_hi:[0,1]
	v_add_f32_e32 v3, v3, v4
	s_delay_alu instid0(VALU_DEP_1) | instskip(NEXT) | instid1(VALU_DEP_1)
	v_dual_add_f32 v73, v3, v5 :: v_dual_mov_b32 v3, v0
	v_pk_add_f32 v[4:5], v[0:1], v[72:73]
	v_pk_add_f32 v[62:63], v[0:1], v[72:73] neg_lo:[0,1] neg_hi:[0,1]
	s_delay_alu instid0(VALU_DEP_2) | instskip(NEXT) | instid1(VALU_DEP_1)
	v_dual_mov_b32 v78, v1 :: v_dual_mov_b32 v63, v5
	v_pk_add_f32 v[74:75], v[2:3], v[62:63]
	s_delay_alu instid0(VALU_DEP_1) | instskip(SKIP_1) | instid1(VALU_DEP_2)
	v_dual_mov_b32 v74, v5 :: v_dual_mov_b32 v72, v75
	v_pk_add_f32 v[2:3], v[2:3], v[62:63] neg_lo:[0,1] neg_hi:[0,1]
	v_pk_add_f32 v[76:77], v[72:73], v[0:1] neg_lo:[0,1] neg_hi:[0,1]
	v_dual_mov_b32 v1, v0 :: v_dual_mov_b32 v0, v73
	s_delay_alu instid0(VALU_DEP_2) | instskip(NEXT) | instid1(VALU_DEP_1)
	v_dual_mov_b32 v61, v76 :: v_dual_mov_b32 v79, v76
	v_pk_add_f32 v[4:5], v[4:5], v[60:61] neg_lo:[0,1] neg_hi:[0,1]
	s_delay_alu instid0(VALU_DEP_2) | instskip(SKIP_1) | instid1(VALU_DEP_2)
	v_pk_add_f32 v[62:63], v[74:75], v[78:79] neg_lo:[0,1] neg_hi:[0,1]
	v_mov_b32_e32 v4, v2
	v_pk_add_f32 v[0:1], v[0:1], v[62:63] neg_lo:[0,1] neg_hi:[0,1]
	s_delay_alu instid0(VALU_DEP_1) | instskip(NEXT) | instid1(VALU_DEP_1)
	v_pk_add_f32 v[4:5], v[4:5], v[0:1]
	v_mov_b32_e32 v62, v5
	s_delay_alu instid0(VALU_DEP_1) | instskip(NEXT) | instid1(VALU_DEP_1)
	v_pk_add_f32 v[62:63], v[4:5], v[62:63]
	v_pk_add_f32 v[72:73], v[72:73], v[62:63]
	v_dual_mov_b32 v3, v75 :: v_dual_sub_nc_u32 v73, 0, v57
	s_delay_alu instid0(VALU_DEP_2) | instskip(NEXT) | instid1(VALU_DEP_1)
	v_mov_b32_e32 v5, v72
	v_pk_add_f32 v[74:75], v[4:5], v[2:3] neg_lo:[0,1] neg_hi:[0,1]
	s_delay_alu instid0(VALU_DEP_1) | instskip(NEXT) | instid1(VALU_DEP_1)
	v_dual_mov_b32 v1, v62 :: v_dual_sub_f32 v3, v4, v74
	v_pk_add_f32 v[0:1], v[0:1], v[74:75] neg_lo:[0,1] neg_hi:[0,1]
	s_delay_alu instid0(VALU_DEP_2) | instskip(SKIP_1) | instid1(VALU_DEP_2)
	v_sub_f32_e32 v2, v2, v3
	v_mul_lo_u32 v3, v58, s72
	v_add_f32_e32 v0, v0, v2
	s_delay_alu instid0(VALU_DEP_1) | instskip(NEXT) | instid1(VALU_DEP_1)
	v_dual_add_f32 v0, v0, v1 :: v_dual_sub_nc_u32 v1, 0, v3
	v_dual_add_f32 v2, v72, v0 :: v_dual_max_i32 v1, v3, v1
	s_delay_alu instid0(VALU_DEP_1) | instskip(NEXT) | instid1(VALU_DEP_2)
	v_dual_sub_f32 v4, v2, v72 :: v_dual_mul_f32 v5, v60, v2
	v_cvt_f32_u32_e32 v58, v1
	s_delay_alu instid0(VALU_DEP_2) | instskip(NEXT) | instid1(VALU_DEP_3)
	v_sub_f32_e32 v0, v0, v4
	v_fma_f32 v2, v60, v2, -v5
	s_delay_alu instid0(VALU_DEP_3) | instskip(SKIP_4) | instid1(TRANS32_DEP_1)
	v_rcp_iflag_f32_e32 v4, v58
	v_nop
	v_sub_nc_u32_e32 v58, 0, v1
	v_cmp_class_f32_e64 vcc_lo, v5, 0x204
	v_fmac_f32_e32 v2, v60, v0
	v_mul_f32_e32 v0, 0x4f7ffffe, v4
	s_delay_alu instid0(VALU_DEP_2) | instskip(NEXT) | instid1(VALU_DEP_1)
	v_add_f32_e32 v4, v5, v2
	v_cndmask_b32_e32 v61, v4, v5, vcc_lo
	s_delay_alu instid0(VALU_DEP_3) | instskip(SKIP_1) | instid1(VALU_DEP_3)
	v_cvt_u32_f32_e32 v0, v0
	v_sub_f32_e32 v4, v4, v5
	v_cmp_eq_f32_e32 vcc_lo, 0x42b17218, v61
	s_delay_alu instid0(VALU_DEP_3) | instskip(SKIP_3) | instid1(VALU_DEP_2)
	v_mul_lo_u32 v58, v58, v0
	v_cmp_neq_f32_e64 s62, 0x7f800000, |v61|
	v_cndmask_b32_e64 v62, 0, 0x37000000, vcc_lo
	v_cmp_gt_f32_e32 vcc_lo, 0, v60
	v_sub_f32_e32 v63, v61, v62
	v_dual_sub_f32 v2, v2, v4 :: v_dual_bitop2_b32 v3, v57, v3 bitop3:0x14
	v_mul_hi_u32 v58, v0, v58
	s_delay_alu instid0(VALU_DEP_3) | instskip(NEXT) | instid1(VALU_DEP_3)
	v_dual_mul_f32 v72, 0x3fb8aa3b, v63 :: v_dual_max_i32 v73, v57, v73
	v_ashrrev_i32_e32 v3, 31, v3
	s_delay_alu instid0(VALU_DEP_2) | instskip(SKIP_2) | instid1(VALU_DEP_2)
	v_fma_f32 v74, 0x3fb8aa3b, v63, -v72
	v_rndne_f32_e32 v75, v72
	v_add_nc_u32_e32 v0, v0, v58
	v_sub_f32_e32 v58, v72, v75
	v_cvt_i32_f32_e32 v57, v75
	v_trunc_f32_e32 v72, v60
	s_delay_alu instid0(VALU_DEP_4) | instskip(SKIP_2) | instid1(VALU_DEP_3)
	v_mul_hi_u32 v0, v73, v0
	v_fmac_f32_e32 v74, 0x32a5705f, v63
	s_wait_xcnt 0x0
	v_cmp_eq_f32_e64 s60, v72, v60
	s_delay_alu instid0(VALU_DEP_2) | instskip(NEXT) | instid1(VALU_DEP_1)
	v_dual_add_f32 v58, v58, v74 :: v_dual_mul_f32 v74, 0.5, v60
	v_exp_f32_e32 v5, v58
	v_nop
	v_mul_lo_u32 v58, v0, v1
	s_delay_alu instid0(VALU_DEP_3) | instskip(NEXT) | instid1(TRANS32_DEP_1)
	v_trunc_f32_e32 v4, v74
	v_ldexp_f32 v5, v5, v57
	v_cndmask_b32_e64 v2, 0, v2, s62
	v_cmp_ngt_f32_e64 s62, 0xc2ce8ed0, v63
	v_dual_add_nc_u32 v57, 1, v0 :: v_dual_sub_nc_u32 v58, v73, v58
	s_delay_alu instid0(VALU_DEP_2) | instskip(SKIP_1) | instid1(VALU_DEP_3)
	v_cndmask_b32_e64 v5, 0, v5, s62
	v_cmp_nlt_f32_e64 s62, 0x42b17218, v63
	v_cmp_ge_u32_e64 s63, v58, v1
	v_add_f32_e32 v2, v62, v2
	s_delay_alu instid0(VALU_DEP_3) | instskip(SKIP_1) | instid1(VALU_DEP_4)
	v_cndmask_b32_e64 v5, 0x7f800000, v5, s62
	v_cmp_neq_f32_e64 s62, v4, v74
	v_cndmask_b32_e64 v0, v0, v57, s63
	s_delay_alu instid0(VALU_DEP_3) | instskip(SKIP_2) | instid1(SALU_CYCLE_1)
	v_dual_sub_nc_u32 v4, v58, v1 :: v_dual_fma_f32 v2, v5, v2, v5
	v_cmp_class_f32_e64 s72, v5, 0x204
	s_and_b32 s62, s60, s62
	v_dual_cndmask_b32 v4, v58, v4, s63 :: v_dual_cndmask_b32 v57, 1.0, v59, s62
	s_xor_b32 s63, vcc_lo, s61
	v_dual_cndmask_b32 v2, v2, v5, s72 :: v_dual_add_nc_u32 v5, 1, v0
	v_cndmask_b32_e64 v58, 0x7f800000, 0, s63
	s_delay_alu instid0(VALU_DEP_2) | instskip(SKIP_2) | instid1(VALU_DEP_3)
	v_bfi_b32 v2, 0x7fffffff, v2, v57
	v_cndmask_b32_e64 v57, 0, v59, s62
	v_cmp_ge_u32_e32 vcc_lo, v4, v1
	v_cndmask_b32_e64 v1, 0x7fc00000, v2, s60
	s_delay_alu instid0(VALU_DEP_3)
	v_bfi_b32 v4, 0x7fffffff, v58, v57
	v_cndmask_b32_e32 v0, v0, v5, vcc_lo
	v_cmp_gt_f32_e32 vcc_lo, 0, v59
	v_cmp_class_f32_e64 s60, v59, 0x204
	v_cndmask_b32_e32 v1, v2, v1, vcc_lo
	s_or_b32 vcc_lo, s61, s60
	s_add_co_i32 s60, s34, 1
	s_delay_alu instid0(VALU_DEP_1) | instskip(SKIP_1) | instid1(VALU_DEP_2)
	v_dual_cndmask_b32 v1, v1, v4, vcc_lo :: v_dual_bitop2_b32 v0, v0, v3 bitop3:0x14
	v_cmp_o_f32_e32 vcc_lo, v59, v59
	v_dual_cndmask_b32 v1, 0x7fc00000, v1 :: v_dual_sub_nc_u32 v0, v0, v3
	v_cmp_eq_u32_e32 vcc_lo, s34, v26
	s_mov_b32 s34, s60
	s_delay_alu instid0(VALU_DEP_2) | instskip(SKIP_1) | instid1(VALU_DEP_1)
	v_cvt_f32_i32_e32 v0, v0
	s_or_b32 s30, vcc_lo, s30
	v_mul_f32_e32 v0, v1, v0
	s_wait_loadcnt 0x0
	s_delay_alu instid0(VALU_DEP_1)
	v_fmac_f32_e32 v44, v88, v0
	s_and_not1_b32 exec_lo, exec_lo, s30
	s_cbranch_execz .LBB0_438
.LBB0_412:                              ;   Parent Loop BB0_225 Depth=1
                                        ;     Parent Loop BB0_405 Depth=2
                                        ; =>    This Loop Header: Depth=3
                                        ;         Child Loop BB0_415 Depth 4
                                        ;         Child Loop BB0_419 Depth 4
	;; [unrolled: 1-line block ×6, first 2 shown]
	v_mov_b32_e32 v57, 1
	s_and_saveexec_b32 s72, s26
	s_cbranch_execz .LBB0_422
; %bb.413:                              ;   in Loop: Header=BB0_412 Depth=3
	v_dual_mov_b32 v0, 2 :: v_dual_mov_b32 v57, 1
	s_mov_b32 s61, -1
	s_and_saveexec_b32 s35, s56
	s_cbranch_execz .LBB0_417
; %bb.414:                              ;   in Loop: Header=BB0_412 Depth=3
	v_mov_b32_e32 v4, v101
	s_mov_b32 s60, 1
	s_mov_b32 s36, 3
	;; [unrolled: 1-line block ×7, first 2 shown]
.LBB0_415:                              ;   Parent Loop BB0_225 Depth=1
                                        ;     Parent Loop BB0_405 Depth=2
                                        ;       Parent Loop BB0_412 Depth=3
                                        ; =>      This Inner Loop Header: Depth=4
	v_add_nc_u32_e32 v4, -4, v4
	s_add_co_i32 s39, s38, 2
	s_add_co_i32 vcc_lo, s36, 2
	s_mul_i32 s61, s61, s36
	s_mul_i32 s60, s60, s38
	s_mul_i32 s63, s63, vcc_lo
	s_mul_i32 s62, s62, s39
	v_cmp_eq_u32_e32 vcc_lo, 0, v4
	v_mov_b64_e32 v[0:1], s[60:61]
	v_mov_b64_e32 v[2:3], s[62:63]
	s_add_co_i32 s38, s38, 4
	s_add_co_i32 s36, s36, 4
	s_or_b32 s37, vcc_lo, s37
	s_delay_alu instid0(SALU_CYCLE_1)
	s_and_not1_b32 exec_lo, exec_lo, s37
	s_cbranch_execnz .LBB0_415
; %bb.416:                              ;   in Loop: Header=BB0_412 Depth=3
	s_or_b32 exec_lo, exec_lo, s37
	v_mul_lo_u32 v1, v3, v1
	v_mul_lo_u32 v0, v2, v0
	s_or_not1_b32 s61, s57, exec_lo
	s_delay_alu instid0(VALU_DEP_1)
	v_mul_lo_u32 v57, v0, v1
	v_mov_b32_e32 v0, v112
.LBB0_417:                              ;   in Loop: Header=BB0_412 Depth=3
	s_or_b32 exec_lo, exec_lo, s35
	s_and_saveexec_b32 s60, s61
	s_cbranch_execz .LBB0_421
; %bb.418:                              ;   in Loop: Header=BB0_412 Depth=3
	s_mov_b32 s61, 0
.LBB0_419:                              ;   Parent Loop BB0_225 Depth=1
                                        ;     Parent Loop BB0_405 Depth=2
                                        ;       Parent Loop BB0_412 Depth=3
                                        ; =>      This Inner Loop Header: Depth=4
	s_delay_alu instid0(VALU_DEP_1) | instskip(SKIP_1) | instid1(VALU_DEP_1)
	v_mul_lo_u32 v57, v57, v0
	v_add_nc_u32_e32 v0, 1, v0
	v_cmp_eq_u32_e32 vcc_lo, v118, v0
	s_or_b32 s61, vcc_lo, s61
	s_delay_alu instid0(SALU_CYCLE_1)
	s_and_not1_b32 exec_lo, exec_lo, s61
	s_cbranch_execnz .LBB0_419
; %bb.420:                              ;   in Loop: Header=BB0_412 Depth=3
	s_or_b32 exec_lo, exec_lo, s61
.LBB0_421:                              ;   in Loop: Header=BB0_412 Depth=3
	s_delay_alu instid0(SALU_CYCLE_1)
	s_or_b32 exec_lo, exec_lo, s60
.LBB0_422:                              ;   in Loop: Header=BB0_412 Depth=3
	s_delay_alu instid0(SALU_CYCLE_1)
	s_or_b32 exec_lo, exec_lo, s72
	s_cmp_lt_u32 s34, 2
	s_mov_b32 s72, 1
	s_cbranch_scc1 .LBB0_430
; %bb.423:                              ;   in Loop: Header=BB0_412 Depth=3
	s_cmp_lt_u32 s34, 5
	s_cbranch_scc1 .LBB0_427
; %bb.424:                              ;   in Loop: Header=BB0_412 Depth=3
	s_and_b32 s61, s31, -4
	s_mov_b32 s60, 1
	s_mov_b32 s62, 3
	s_mov_b32 s72, 2
	s_mov_b32 vcc_lo, 1
	s_mov_b32 s63, 1
	s_mov_b32 s35, 1
.LBB0_425:                              ;   Parent Loop BB0_225 Depth=1
                                        ;     Parent Loop BB0_405 Depth=2
                                        ;       Parent Loop BB0_412 Depth=3
                                        ; =>      This Inner Loop Header: Depth=4
	s_add_co_i32 s36, s72, 2
	s_add_co_i32 s37, s62, 2
	s_add_co_i32 s61, s61, -4
	s_mul_i32 vcc_lo, vcc_lo, s62
	s_mul_i32 s60, s60, s72
	s_add_co_i32 s72, s72, 4
	s_add_co_i32 s62, s62, 4
	s_mul_i32 s35, s35, s37
	s_cmp_lg_u32 s61, 0
	s_mul_i32 s63, s63, s36
	s_cbranch_scc1 .LBB0_425
; %bb.426:                              ;   in Loop: Header=BB0_412 Depth=3
	s_add_co_i32 s62, s34, -1
	s_mul_i32 vcc_lo, s35, vcc_lo
	s_and_b32 s72, s62, -4
	s_mul_i32 s60, s63, s60
	s_or_b32 s61, s72, 2
	s_cmp_lg_u32 s62, s72
	s_mul_i32 s72, s60, vcc_lo
	s_cselect_b32 s60, -1, 0
	s_delay_alu instid0(SALU_CYCLE_1)
	s_and_b32 vcc_lo, exec_lo, s60
	s_cbranch_vccnz .LBB0_428
	s_branch .LBB0_430
.LBB0_427:                              ;   in Loop: Header=BB0_412 Depth=3
	s_mov_b32 s61, 2
	s_cbranch_execz .LBB0_430
.LBB0_428:                              ;   in Loop: Header=BB0_412 Depth=3
	s_add_co_i32 s60, s34, 1
.LBB0_429:                              ;   Parent Loop BB0_225 Depth=1
                                        ;     Parent Loop BB0_405 Depth=2
                                        ;       Parent Loop BB0_412 Depth=3
                                        ; =>      This Inner Loop Header: Depth=4
	s_mul_i32 s72, s72, s61
	s_add_co_i32 s61, s61, 1
	s_delay_alu instid0(SALU_CYCLE_1)
	s_cmp_lg_u32 s60, s61
	s_cbranch_scc1 .LBB0_429
.LBB0_430:                              ;   in Loop: Header=BB0_412 Depth=3
	v_subrev_nc_u32_e32 v4, s34, v26
	v_mov_b32_e32 v58, 1
	s_mov_b32 s35, exec_lo
	s_delay_alu instid0(VALU_DEP_2)
	v_cmpx_lt_i32_e32 1, v4
	s_cbranch_execz .LBB0_411
; %bb.431:                              ;   in Loop: Header=BB0_412 Depth=3
	v_subrev_nc_u32_e32 v5, s34, v66
	v_dual_mov_b32 v0, 2 :: v_dual_mov_b32 v58, 1
	s_mov_b32 s61, -1
	s_mov_b32 s36, exec_lo
	s_delay_alu instid0(VALU_DEP_2)
	v_cmpx_lt_u32_e32 3, v5
	s_cbranch_execz .LBB0_435
; %bb.432:                              ;   in Loop: Header=BB0_412 Depth=3
	v_and_b32_e32 v58, -4, v56
	s_mov_b32 s60, 1
	s_mov_b32 s37, 3
	;; [unrolled: 1-line block ×7, first 2 shown]
.LBB0_433:                              ;   Parent Loop BB0_225 Depth=1
                                        ;     Parent Loop BB0_405 Depth=2
                                        ;       Parent Loop BB0_412 Depth=3
                                        ; =>      This Inner Loop Header: Depth=4
	v_add_nc_u32_e32 v58, -4, v58
	s_add_co_i32 s48, s39, 2
	s_add_co_i32 vcc_lo, s37, 2
	s_mul_i32 s61, s61, s37
	s_mul_i32 s60, s60, s39
	s_mul_i32 s63, s63, vcc_lo
	s_mul_i32 s62, s62, s48
	v_cmp_eq_u32_e32 vcc_lo, 0, v58
	v_mov_b64_e32 v[0:1], s[60:61]
	v_mov_b64_e32 v[2:3], s[62:63]
	s_add_co_i32 s39, s39, 4
	s_add_co_i32 s37, s37, 4
	s_or_b32 s38, vcc_lo, s38
	s_delay_alu instid0(SALU_CYCLE_1)
	s_and_not1_b32 exec_lo, exec_lo, s38
	s_cbranch_execnz .LBB0_433
; %bb.434:                              ;   in Loop: Header=BB0_412 Depth=3
	s_or_b32 exec_lo, exec_lo, s38
	v_mul_lo_u32 v1, v3, v1
	v_mul_lo_u32 v0, v2, v0
	v_and_b32_e32 v2, -4, v5
	s_delay_alu instid0(VALU_DEP_1) | instskip(SKIP_1) | instid1(VALU_DEP_3)
	v_cmp_ne_u32_e32 vcc_lo, v5, v2
	s_or_not1_b32 s61, vcc_lo, exec_lo
	v_mul_lo_u32 v58, v0, v1
	v_or_b32_e32 v0, 2, v2
.LBB0_435:                              ;   in Loop: Header=BB0_412 Depth=3
	s_or_b32 exec_lo, exec_lo, s36
	s_and_saveexec_b32 s60, s61
	s_cbranch_execz .LBB0_410
; %bb.436:                              ;   in Loop: Header=BB0_412 Depth=3
	s_mov_b32 s61, 0
.LBB0_437:                              ;   Parent Loop BB0_225 Depth=1
                                        ;     Parent Loop BB0_405 Depth=2
                                        ;       Parent Loop BB0_412 Depth=3
                                        ; =>      This Inner Loop Header: Depth=4
	s_delay_alu instid0(VALU_DEP_2) | instskip(SKIP_1) | instid1(VALU_DEP_1)
	v_mul_lo_u32 v58, v58, v0
	v_add_nc_u32_e32 v0, 1, v0
	v_cmp_eq_u32_e32 vcc_lo, v47, v0
	s_or_b32 s61, vcc_lo, s61
	s_delay_alu instid0(SALU_CYCLE_1)
	s_and_not1_b32 exec_lo, exec_lo, s61
	s_cbranch_execnz .LBB0_437
	s_branch .LBB0_409
.LBB0_438:                              ;   in Loop: Header=BB0_405 Depth=2
	s_or_b32 exec_lo, exec_lo, s30
	s_delay_alu instid0(SALU_CYCLE_1)
	s_or_b32 exec_lo, exec_lo, vcc_hi
	v_mov_b32_e32 v4, 1
	s_and_saveexec_b32 s72, s28
	s_cbranch_execz .LBB0_407
.LBB0_439:                              ;   in Loop: Header=BB0_405 Depth=2
	v_dual_mov_b32 v0, 2 :: v_dual_mov_b32 v4, 1
	s_mov_b32 s61, -1
	s_and_saveexec_b32 vcc_hi, s58
	s_cbranch_execz .LBB0_443
; %bb.440:                              ;   in Loop: Header=BB0_405 Depth=2
	v_mov_b32_e32 v4, v103
	s_mov_b32 s60, 1
	s_mov_b32 s30, 3
	s_mov_b32 s34, 2
	s_mov_b32 s31, 0
	s_mov_b32 s61, s60
	s_mov_b32 s62, s60
	s_mov_b32 s63, s60
.LBB0_441:                              ;   Parent Loop BB0_225 Depth=1
                                        ;     Parent Loop BB0_405 Depth=2
                                        ; =>    This Inner Loop Header: Depth=3
	v_add_nc_u32_e32 v4, -4, v4
	s_add_co_i32 s35, s34, 2
	s_add_co_i32 vcc_lo, s30, 2
	s_mul_i32 s61, s61, s30
	s_mul_i32 s60, s60, s34
	s_mul_i32 s63, s63, vcc_lo
	s_mul_i32 s62, s62, s35
	v_cmp_eq_u32_e32 vcc_lo, 0, v4
	v_mov_b64_e32 v[0:1], s[60:61]
	v_mov_b64_e32 v[2:3], s[62:63]
	s_add_co_i32 s34, s34, 4
	s_add_co_i32 s30, s30, 4
	s_or_b32 s31, vcc_lo, s31
	s_delay_alu instid0(SALU_CYCLE_1)
	s_and_not1_b32 exec_lo, exec_lo, s31
	s_cbranch_execnz .LBB0_441
; %bb.442:                              ;   in Loop: Header=BB0_405 Depth=2
	s_or_b32 exec_lo, exec_lo, s31
	v_mul_lo_u32 v1, v3, v1
	v_mul_lo_u32 v0, v2, v0
	s_or_not1_b32 s61, s59, exec_lo
	s_delay_alu instid0(VALU_DEP_1)
	v_mul_lo_u32 v4, v0, v1
	v_mov_b32_e32 v0, v113
.LBB0_443:                              ;   in Loop: Header=BB0_405 Depth=2
	s_or_b32 exec_lo, exec_lo, vcc_hi
	s_and_saveexec_b32 s60, s61
	s_cbranch_execz .LBB0_447
; %bb.444:                              ;   in Loop: Header=BB0_405 Depth=2
	s_mov_b32 s61, 0
.LBB0_445:                              ;   Parent Loop BB0_225 Depth=1
                                        ;     Parent Loop BB0_405 Depth=2
                                        ; =>    This Inner Loop Header: Depth=3
	s_delay_alu instid0(VALU_DEP_1) | instskip(SKIP_1) | instid1(VALU_DEP_1)
	v_mul_lo_u32 v4, v4, v0
	v_add_nc_u32_e32 v0, 1, v0
	v_cmp_eq_u32_e32 vcc_lo, v119, v0
	s_or_b32 s61, vcc_lo, s61
	s_delay_alu instid0(SALU_CYCLE_1)
	s_and_not1_b32 exec_lo, exec_lo, s61
	s_cbranch_execnz .LBB0_445
; %bb.446:                              ;   in Loop: Header=BB0_405 Depth=2
	s_or_b32 exec_lo, exec_lo, s61
.LBB0_447:                              ;   in Loop: Header=BB0_405 Depth=2
	s_delay_alu instid0(SALU_CYCLE_1) | instskip(NEXT) | instid1(SALU_CYCLE_1)
	s_or_b32 exec_lo, exec_lo, s60
	s_or_b32 exec_lo, exec_lo, s72
	s_cmp_lt_u32 s95, 2
	s_mov_b32 s72, 1
	s_cbranch_scc1 .LBB0_455
.LBB0_448:                              ;   in Loop: Header=BB0_405 Depth=2
	s_cmp_lt_u32 s95, 5
	s_cbranch_scc1 .LBB0_452
; %bb.449:                              ;   in Loop: Header=BB0_405 Depth=2
	s_and_b32 s61, s94, -4
	s_mov_b32 s60, 1
	s_mov_b32 s62, 3
	;; [unrolled: 1-line block ×3, first 2 shown]
	s_mov_b32 vcc_lo, 1
	s_mov_b32 s63, 1
	s_mov_b32 vcc_hi, 1
.LBB0_450:                              ;   Parent Loop BB0_225 Depth=1
                                        ;     Parent Loop BB0_405 Depth=2
                                        ; =>    This Inner Loop Header: Depth=3
	s_add_co_i32 s30, s72, 2
	s_add_co_i32 s31, s62, 2
	s_add_co_i32 s61, s61, -4
	s_mul_i32 vcc_lo, vcc_lo, s62
	s_mul_i32 s60, s60, s72
	s_add_co_i32 s72, s72, 4
	s_add_co_i32 s62, s62, 4
	s_mul_i32 vcc_hi, vcc_hi, s31
	s_cmp_lg_u32 s61, 0
	s_mul_i32 s63, s63, s30
	s_cbranch_scc1 .LBB0_450
; %bb.451:                              ;   in Loop: Header=BB0_405 Depth=2
	s_add_co_i32 s62, s95, -1
	s_mul_i32 vcc_lo, vcc_hi, vcc_lo
	s_and_b32 s72, s62, -4
	s_mul_i32 s60, s63, s60
	s_or_b32 s61, s72, 2
	s_cmp_lg_u32 s62, s72
	s_mul_i32 s72, s60, vcc_lo
	s_cselect_b32 s60, -1, 0
	s_delay_alu instid0(SALU_CYCLE_1)
	s_and_b32 vcc_lo, exec_lo, s60
	s_cbranch_vccnz .LBB0_453
	s_branch .LBB0_455
.LBB0_452:                              ;   in Loop: Header=BB0_405 Depth=2
	s_mov_b32 s61, 2
	s_cbranch_execz .LBB0_455
.LBB0_453:                              ;   in Loop: Header=BB0_405 Depth=2
	s_add_co_i32 s60, s95, 1
.LBB0_454:                              ;   Parent Loop BB0_225 Depth=1
                                        ;     Parent Loop BB0_405 Depth=2
                                        ; =>    This Inner Loop Header: Depth=3
	s_mul_i32 s72, s72, s61
	s_add_co_i32 s61, s61, 1
	s_delay_alu instid0(SALU_CYCLE_1)
	s_cmp_lg_u32 s60, s61
	s_cbranch_scc1 .LBB0_454
.LBB0_455:                              ;   in Loop: Header=BB0_405 Depth=2
	v_subrev_nc_u32_e32 v5, s95, v29
	v_mov_b32_e32 v1, 1
	s_mov_b32 vcc_hi, exec_lo
	s_delay_alu instid0(VALU_DEP_2)
	v_cmpx_lt_i32_e32 1, v5
	s_cbranch_execz .LBB0_404
; %bb.456:                              ;   in Loop: Header=BB0_405 Depth=2
	v_subrev_nc_u32_e32 v46, s95, v39
	v_dual_mov_b32 v0, 2 :: v_dual_mov_b32 v1, 1
	s_mov_b32 s61, -1
	s_mov_b32 s30, exec_lo
	s_delay_alu instid0(VALU_DEP_2)
	v_cmpx_lt_u32_e32 3, v46
	s_cbranch_execz .LBB0_460
; %bb.457:                              ;   in Loop: Header=BB0_405 Depth=2
	v_and_b32_e32 v47, -4, v43
	s_mov_b32 s60, 1
	s_mov_b32 s31, 3
	;; [unrolled: 1-line block ×7, first 2 shown]
.LBB0_458:                              ;   Parent Loop BB0_225 Depth=1
                                        ;     Parent Loop BB0_405 Depth=2
                                        ; =>    This Inner Loop Header: Depth=3
	v_add_nc_u32_e32 v47, -4, v47
	s_add_co_i32 s36, s35, 2
	s_add_co_i32 vcc_lo, s31, 2
	s_mul_i32 s61, s61, s31
	s_mul_i32 s60, s60, s35
	s_mul_i32 s63, s63, vcc_lo
	s_mul_i32 s62, s62, s36
	v_cmp_eq_u32_e32 vcc_lo, 0, v47
	v_mov_b64_e32 v[0:1], s[60:61]
	v_mov_b64_e32 v[2:3], s[62:63]
	s_add_co_i32 s35, s35, 4
	s_add_co_i32 s31, s31, 4
	s_or_b32 s34, vcc_lo, s34
	s_delay_alu instid0(SALU_CYCLE_1)
	s_and_not1_b32 exec_lo, exec_lo, s34
	s_cbranch_execnz .LBB0_458
; %bb.459:                              ;   in Loop: Header=BB0_405 Depth=2
	s_or_b32 exec_lo, exec_lo, s34
	v_mul_lo_u32 v1, v3, v1
	v_mul_lo_u32 v0, v2, v0
	v_and_b32_e32 v2, -4, v46
	s_delay_alu instid0(VALU_DEP_1) | instskip(SKIP_1) | instid1(VALU_DEP_3)
	v_cmp_ne_u32_e32 vcc_lo, v46, v2
	s_or_not1_b32 s61, vcc_lo, exec_lo
	v_mul_lo_u32 v1, v0, v1
	v_or_b32_e32 v0, 2, v2
.LBB0_460:                              ;   in Loop: Header=BB0_405 Depth=2
	s_or_b32 exec_lo, exec_lo, s30
	s_and_saveexec_b32 s60, s61
	s_cbranch_execz .LBB0_403
; %bb.461:                              ;   in Loop: Header=BB0_405 Depth=2
	s_mov_b32 s61, 0
.LBB0_462:                              ;   Parent Loop BB0_225 Depth=1
                                        ;     Parent Loop BB0_405 Depth=2
                                        ; =>    This Inner Loop Header: Depth=3
	s_delay_alu instid0(VALU_DEP_2) | instskip(SKIP_1) | instid1(VALU_DEP_1)
	v_mul_lo_u32 v1, v1, v0
	v_add_nc_u32_e32 v0, 1, v0
	v_cmp_eq_u32_e32 vcc_lo, v42, v0
	s_or_b32 s61, vcc_lo, s61
	s_delay_alu instid0(SALU_CYCLE_1)
	s_and_not1_b32 exec_lo, exec_lo, s61
	s_cbranch_execnz .LBB0_462
; %bb.463:                              ;   in Loop: Header=BB0_405 Depth=2
	s_or_b32 exec_lo, exec_lo, s61
	s_branch .LBB0_403
.LBB0_464:
	s_or_b32 exec_lo, exec_lo, s74
.LBB0_465:
	s_delay_alu instid0(SALU_CYCLE_1)
	s_or_b32 exec_lo, exec_lo, s73
	s_clause 0x1a
	scratch_load_b32 v90, off, s32
	scratch_load_b32 v89, off, s32 offset:4
	scratch_load_b32 v88, off, s32 offset:8
	;; [unrolled: 1-line block ×26, first 2 shown]
	v_mul_f32_e32 v0, 0x4f800000, v31
	v_cmp_gt_f32_e32 vcc_lo, 0xf800000, v31
	v_cvt_f32_f64_e32 v5, v[14:15]
	v_readlane_b32 s30, v91, 7
	v_readlane_b32 s31, v91, 8
	;; [unrolled: 1-line block ×3, first 2 shown]
	v_cndmask_b32_e32 v0, v31, v0, vcc_lo
	v_readlane_b32 s39, v91, 5
	v_readlane_b32 s38, v91, 4
	;; [unrolled: 1-line block ×4, first 2 shown]
	v_sqrt_f32_e32 v1, v0
	v_readlane_b32 s35, v91, 1
	v_readlane_b32 s34, v91, 0
	s_delay_alu instid0(TRANS32_DEP_1) | instskip(NEXT) | instid1(VALU_DEP_1)
	v_dual_add_nc_u32 v2, -1, v1 :: v_dual_add_nc_u32 v3, 1, v1
	v_dual_fma_f32 v4, -v2, v1, v0 :: v_dual_fma_f32 v7, -v3, v1, v0
	s_delay_alu instid0(VALU_DEP_1) | instskip(NEXT) | instid1(VALU_DEP_1)
	v_cmp_ge_f32_e64 s0, 0, v4
	v_cndmask_b32_e64 v1, v1, v2, s0
	s_delay_alu instid0(VALU_DEP_3) | instskip(SKIP_2) | instid1(VALU_DEP_3)
	v_cmp_lt_f32_e64 s0, 0, v7
	v_cvt_f32_f64_e32 v2, v[10:11]
	v_cvt_f32_f64_e32 v7, v[18:19]
	v_cndmask_b32_e64 v1, v1, v3, s0
	v_cvt_f32_f64_e32 v3, v[22:23]
	s_delay_alu instid0(VALU_DEP_2) | instskip(NEXT) | instid1(VALU_DEP_1)
	v_mul_f32_e32 v4, 0x37800000, v1
	v_cndmask_b32_e32 v1, v1, v4, vcc_lo
	v_cmp_class_f32_e64 vcc_lo, v0, 0x260
	s_delay_alu instid0(VALU_DEP_2) | instskip(NEXT) | instid1(VALU_DEP_1)
	v_cndmask_b32_e32 v0, v1, v0, vcc_lo
	v_mul_f32_e32 v0, 0x3f906ebb, v0
	s_delay_alu instid0(VALU_DEP_1) | instskip(NEXT) | instid1(VALU_DEP_1)
	v_mul_f32_e32 v0, v0, v5
	v_mul_f32_e32 v0, v0, v2
	s_delay_alu instid0(VALU_DEP_1) | instskip(NEXT) | instid1(VALU_DEP_1)
	v_mul_f32_e32 v0, v0, v3
	v_mul_f32_e32 v0, v0, v7
	s_delay_alu instid0(VALU_DEP_1)
	v_mul_f32_e32 v0, v0, v6
	s_wait_xcnt 0x0
	s_or_saveexec_b32 s0, -1
	scratch_load_b32 v91, off, s32 offset:372 ; 4-byte Folded Reload
	s_wait_xcnt 0x0
	s_mov_b32 exec_lo, s0
	s_wait_loadcnt 0x0
	s_set_pc_i64 s[30:31]
.LBB0_466:
	s_or_b32 exec_lo, exec_lo, s0
                                        ; implicit-def: $vgpr8
	s_and_not1_saveexec_b32 s0, s6
	s_cbranch_execnz .LBB0_175
.LBB0_467:
	s_or_b32 exec_lo, exec_lo, s0
                                        ; implicit-def: $vgpr8
	s_and_not1_saveexec_b32 s0, s5
	s_cbranch_execnz .LBB0_189
.LBB0_468:
	s_or_b32 exec_lo, exec_lo, s0
                                        ; implicit-def: $vgpr8
	s_and_not1_saveexec_b32 s1, s4
	s_cbranch_execnz .LBB0_203
	s_branch .LBB0_216
.Lfunc_end0:
	.size	_Z12cuda_rys_pbfPKdS0_S0_S0_, .Lfunc_end0-_Z12cuda_rys_pbfPKdS0_S0_S0_
                                        ; -- End function
	.set .L_Z12cuda_rys_pbfPKdS0_S0_S0_.num_vgpr, 120
	.set .L_Z12cuda_rys_pbfPKdS0_S0_S0_.num_agpr, 0
	.set .L_Z12cuda_rys_pbfPKdS0_S0_S0_.numbered_sgpr, 96
	.set .L_Z12cuda_rys_pbfPKdS0_S0_S0_.num_named_barrier, 0
	.set .L_Z12cuda_rys_pbfPKdS0_S0_S0_.private_seg_size, 384
	.set .L_Z12cuda_rys_pbfPKdS0_S0_S0_.uses_vcc, 1
	.set .L_Z12cuda_rys_pbfPKdS0_S0_S0_.uses_flat_scratch, 1
	.set .L_Z12cuda_rys_pbfPKdS0_S0_S0_.has_dyn_sized_stack, 0
	.set .L_Z12cuda_rys_pbfPKdS0_S0_S0_.has_recursion, 0
	.set .L_Z12cuda_rys_pbfPKdS0_S0_S0_.has_indirect_call, 0
	.section	.AMDGPU.csdata,"",@progbits
; Function info:
; codeLenInByte = 66944
; TotalNumSgprs: 98
; NumVgprs: 120
; ScratchSize: 384
; MemoryBound: 0
	.text
	.protected	_Z13cuda_mat_J_PIPKdPKiiS0_PdS0_ ; -- Begin function _Z13cuda_mat_J_PIPKdPKiiS0_PdS0_
	.globl	_Z13cuda_mat_J_PIPKdPKiiS0_PdS0_
	.p2align	8
	.type	_Z13cuda_mat_J_PIPKdPKiiS0_PdS0_,@function
_Z13cuda_mat_J_PIPKdPKiiS0_PdS0_:       ; @_Z13cuda_mat_J_PIPKdPKiiS0_PdS0_
; %bb.0:
	s_load_b32 s33, s[0:1], 0x10
	s_bfe_u32 s3, ttmp6, 0x4000c
	s_bfe_u32 s4, ttmp6, 0x40010
	s_add_co_i32 s3, s3, 1
	s_add_co_i32 s4, s4, 1
	s_and_b32 s2, ttmp6, 15
	s_bfe_u32 s5, ttmp6, 0x40004
	s_mul_i32 s3, ttmp9, s3
	s_mul_i32 s4, ttmp7, s4
	s_getreg_b32 s6, hwreg(HW_REG_IB_STS2, 6, 4)
	s_add_co_i32 s2, s2, s3
	s_add_co_i32 s5, s5, s4
	s_cmp_eq_u32 s6, 0
	s_mov_b32 s32, 0
	s_cselect_b32 s64, ttmp9, s2
	s_cselect_b32 s50, ttmp7, s5
	s_wait_kmcnt 0x0
	s_cmp_ge_i32 s64, s33
	s_cselect_b32 s2, -1, 0
	s_cmp_gt_i32 s50, s64
	s_cselect_b32 s3, -1, 0
	s_delay_alu instid0(SALU_CYCLE_1) | instskip(NEXT) | instid1(SALU_CYCLE_1)
	s_or_b32 s2, s3, s2
	s_and_b32 vcc_lo, exec_lo, s2
	s_cbranch_vccnz .LBB1_12
; %bb.1:
	s_load_b64 s[66:67], s[0:1], 0x20
	v_bfe_u32 v40, v0, 10, 10
	v_and_b32_e32 v41, 0x3ff, v0
	v_mov_b64_e32 v[92:93], 0
	s_mov_b32 s49, exec_lo
	s_delay_alu instid0(VALU_DEP_3) | instskip(NEXT) | instid1(VALU_DEP_1)
	v_lshlrev_b32_e32 v42, 3, v40
	v_lshl_add_u32 v43, v41, 6, v42
	ds_store_b64 v43, v[92:93]
	v_cmpx_gt_i32_e64 s33, v41
	s_cbranch_execz .LBB1_10
; %bb.2:
	s_clause 0x1
	s_load_b128 s[52:55], s[0:1], 0x0
	s_load_b64 s[68:69], s[0:1], 0x18
	s_ashr_i32 s65, s64, 31
	s_ashr_i32 s51, s50, 31
	s_lshl_b64 s[2:3], s[64:65], 2
	s_lshl_b64 s[4:5], s[50:51], 2
	v_dual_mov_b32 v95, 0 :: v_dual_lshlrev_b32 v94, 2, v40
	v_mov_b32_e32 v44, v41
	s_mov_b64 s[80:81], 0x3c9cd2b297d889bc
	s_mov_b32 s51, 0
	s_get_pc_i64 s[82:83]
	s_add_nc_u64 s[82:83], s[82:83], _Z12cuda_rys_pbfPKdS0_S0_S0_@rel64+4
	s_wait_kmcnt 0x0
	s_add_nc_u64 s[2:3], s[54:55], s[2:3]
	s_add_nc_u64 s[4:5], s[54:55], s[4:5]
	s_clause 0x1
	s_load_b32 s6, s[2:3], 0x0
	s_load_b32 s7, s[4:5], 0x0
	s_load_b64 s[70:71], s[0:1], 0x28
	s_wait_xcnt 0x0
	s_lshl_b32 s0, s64, 3
	s_lshl_b32 s2, s50, 3
	s_ashr_i32 s1, s0, 31
	v_add_nc_u64_e32 v[104:105], s[54:55], v[94:95]
	s_lshl_b64 s[0:1], s[0:1], 3
	s_delay_alu instid0(SALU_CYCLE_1) | instskip(SKIP_2) | instid1(SALU_CYCLE_1)
	s_add_nc_u64 s[84:85], s[52:53], s[0:1]
	s_wait_kmcnt 0x0
	s_max_i32 s3, s6, s7
	s_add_co_i32 s4, s3, 1
	s_delay_alu instid0(SALU_CYCLE_1)
	s_mul_i32 s4, s4, s3
	s_ashr_i32 s3, s2, 31
	s_lshr_b32 s5, s4, 31
	s_lshl_b64 s[2:3], s[2:3], 3
	s_add_co_i32 s4, s4, s5
	s_min_i32 s5, s6, s7
	s_ashr_i32 s4, s4, 1
	s_add_nc_u64 s[86:87], s[52:53], s[2:3]
	s_add_co_i32 s4, s4, s5
	s_delay_alu instid0(SALU_CYCLE_1) | instskip(NEXT) | instid1(SALU_CYCLE_1)
	s_ashr_i32 s5, s4, 31
	s_lshl_b64 s[0:1], s[4:5], 3
	s_delay_alu instid0(SALU_CYCLE_1)
	s_add_nc_u64 s[96:97], s[70:71], s[0:1]
	s_branch .LBB1_5
.LBB1_3:                                ;   in Loop: Header=BB1_5 Depth=1
	s_or_b32 exec_lo, exec_lo, s100
.LBB1_4:                                ;   in Loop: Header=BB1_5 Depth=1
	s_delay_alu instid0(SALU_CYCLE_1) | instskip(SKIP_1) | instid1(VALU_DEP_1)
	s_or_b32 exec_lo, exec_lo, s65
	v_add_nc_u32_e32 v44, 8, v44
	v_cmp_le_i32_e32 vcc_lo, s33, v44
	s_or_b32 s51, vcc_lo, s51
	s_delay_alu instid0(SALU_CYCLE_1)
	s_and_not1_b32 exec_lo, exec_lo, s51
	s_cbranch_execz .LBB1_10
.LBB1_5:                                ; =>This Loop Header: Depth=1
                                        ;     Child Loop BB1_8 Depth 2
	s_mov_b32 s65, exec_lo
	v_cmpx_le_u32_e64 v40, v44
	s_cbranch_execz .LBB1_4
; %bb.6:                                ;   in Loop: Header=BB1_5 Depth=1
	global_load_b32 v45, v44, s[54:55] scale_offset
	s_load_b64 s[98:99], s[96:97], 0x0
	v_dual_lshlrev_b32 v94, 3, v44 :: v_dual_mov_b32 v46, v40
	v_mov_b64_e32 v[106:107], v[104:105]
	s_mov_b32 s100, 0
	s_delay_alu instid0(VALU_DEP_2)
	v_lshl_add_u64 v[88:89], v[94:95], 3, s[52:53]
	v_mov_b32_e32 v94, v42
	s_branch .LBB1_8
.LBB1_7:                                ;   in Loop: Header=BB1_8 Depth=2
	s_or_b32 exec_lo, exec_lo, s101
	v_add_nc_u32_e32 v46, 8, v46
	v_add_nc_u64_e32 v[106:107], 32, v[106:107]
	v_add_nc_u32_e32 v94, 64, v94
	s_delay_alu instid0(VALU_DEP_3) | instskip(SKIP_1) | instid1(SALU_CYCLE_1)
	v_cmp_gt_u32_e32 vcc_lo, v46, v44
	s_or_b32 s100, vcc_lo, s100
	s_and_not1_b32 exec_lo, exec_lo, s100
	s_cbranch_execz .LBB1_3
.LBB1_8:                                ;   Parent Loop BB1_5 Depth=1
                                        ; =>  This Inner Loop Header: Depth=2
	global_load_b32 v0, v[106:107], off
	s_mov_b32 s101, exec_lo
	s_wait_loadcnt 0x0
	v_max_i32_e32 v1, v45, v0
	v_min_i32_e32 v0, v45, v0
	s_delay_alu instid0(VALU_DEP_2) | instskip(NEXT) | instid1(VALU_DEP_1)
	v_mad_u32 v1, v1, v1, v1
	v_lshrrev_b32_e32 v2, 31, v1
	s_delay_alu instid0(VALU_DEP_1) | instskip(NEXT) | instid1(VALU_DEP_1)
	v_add_nc_u32_e32 v1, v1, v2
	v_ashrrev_i32_e32 v1, 1, v1
	s_delay_alu instid0(VALU_DEP_1)
	v_add_nc_u32_e32 v2, v1, v0
	s_clause 0x1
	global_load_b64 v[0:1], v2, s[70:71] scale_offset
	global_load_b64 v[108:109], v2, s[68:69] scale_offset
	s_wait_loadcnt 0x1
	s_wait_kmcnt 0x0
	v_mul_f64_e32 v[0:1], s[98:99], v[0:1]
	s_wait_loadcnt 0x0
	s_delay_alu instid0(VALU_DEP_1) | instskip(SKIP_1) | instid1(VALU_DEP_1)
	v_mul_f64_e32 v[0:1], v[0:1], v[108:109]
	s_wait_xcnt 0x0
	v_cmpx_nlt_f64_e64 |v[0:1]|, s[80:81]
	s_cbranch_execz .LBB1_7
; %bb.9:                                ;   in Loop: Header=BB1_8 Depth=2
	v_lshl_add_u64 v[6:7], v[94:95], 3, s[52:53]
	v_dual_mov_b32 v0, s84 :: v_dual_mov_b32 v1, s85
	v_dual_mov_b32 v2, s86 :: v_dual_mov_b32 v3, s87
	;; [unrolled: 1-line block ×3, first 2 shown]
	s_swap_pc_i64 s[30:31], s[82:83]
	s_delay_alu instid0(VALU_DEP_3) | instskip(SKIP_3) | instid1(VALU_DEP_4)
	v_cvt_f64_f32_e32 v[0:1], v0
	v_cmp_eq_u32_e32 vcc_lo, v44, v46
	v_mov_b32_e32 v2, v95
	v_cndmask_b32_e64 v3, 2.0, 0x3ff00000, vcc_lo
	v_mul_f64_e32 v[0:1], v[108:109], v[0:1]
	s_delay_alu instid0(VALU_DEP_1)
	v_fmac_f64_e32 v[92:93], v[2:3], v[0:1]
	ds_store_b64 v43, v[92:93]
	s_branch .LBB1_7
.LBB1_10:
	s_or_b32 exec_lo, exec_lo, s49
	v_or_b32_e32 v0, v41, v40
	s_wait_storecnt_dscnt 0x0
	s_barrier_signal -1
	s_barrier_wait -1
	s_wait_xcnt 0x0
	s_mov_b32 s0, exec_lo
	v_cmpx_eq_u32_e32 0, v0
	s_cbranch_execz .LBB1_12
; %bb.11:
	v_mov_b32_e32 v10, 0
	s_add_co_i32 s0, s64, 1
	ds_load_b128 v[0:3], v10
	ds_load_b128 v[4:7], v10 offset:16
	s_mul_i32 s0, s0, s64
	s_delay_alu instid0(SALU_CYCLE_1) | instskip(NEXT) | instid1(SALU_CYCLE_1)
	s_lshr_b32 s1, s0, 31
	s_add_co_i32 s0, s0, s1
	s_delay_alu instid0(SALU_CYCLE_1) | instskip(NEXT) | instid1(SALU_CYCLE_1)
	s_ashr_i32 s0, s0, 1
	s_add_co_i32 s0, s0, s50
	s_wait_dscnt 0x1
	v_add_f64_e32 v[0:1], 0, v[0:1]
	s_delay_alu instid0(VALU_DEP_1) | instskip(SKIP_1) | instid1(VALU_DEP_1)
	v_add_f64_e32 v[0:1], v[2:3], v[0:1]
	s_wait_dscnt 0x0
	v_add_f64_e32 v[0:1], v[4:5], v[0:1]
	s_delay_alu instid0(VALU_DEP_1) | instskip(SKIP_4) | instid1(VALU_DEP_1)
	v_add_f64_e32 v[8:9], v[6:7], v[0:1]
	ds_load_b128 v[0:3], v10 offset:32
	ds_load_b128 v[4:7], v10 offset:48
	s_wait_dscnt 0x1
	v_add_f64_e32 v[0:1], v[0:1], v[8:9]
	v_add_f64_e32 v[0:1], v[2:3], v[0:1]
	s_wait_dscnt 0x0
	s_delay_alu instid0(VALU_DEP_1) | instskip(NEXT) | instid1(VALU_DEP_1)
	v_add_f64_e32 v[0:1], v[4:5], v[0:1]
	v_add_f64_e32 v[8:9], v[6:7], v[0:1]
	ds_load_b128 v[0:3], v10 offset:64
	ds_load_b128 v[4:7], v10 offset:80
	s_wait_dscnt 0x1
	v_add_f64_e32 v[0:1], v[0:1], v[8:9]
	s_delay_alu instid0(VALU_DEP_1) | instskip(SKIP_1) | instid1(VALU_DEP_1)
	v_add_f64_e32 v[0:1], v[2:3], v[0:1]
	s_wait_dscnt 0x0
	v_add_f64_e32 v[0:1], v[4:5], v[0:1]
	s_delay_alu instid0(VALU_DEP_1) | instskip(SKIP_4) | instid1(VALU_DEP_1)
	v_add_f64_e32 v[8:9], v[6:7], v[0:1]
	ds_load_b128 v[0:3], v10 offset:96
	ds_load_b128 v[4:7], v10 offset:112
	s_wait_dscnt 0x1
	v_add_f64_e32 v[0:1], v[0:1], v[8:9]
	v_add_f64_e32 v[0:1], v[2:3], v[0:1]
	s_wait_dscnt 0x0
	s_delay_alu instid0(VALU_DEP_1) | instskip(NEXT) | instid1(VALU_DEP_1)
	v_add_f64_e32 v[0:1], v[4:5], v[0:1]
	v_add_f64_e32 v[8:9], v[6:7], v[0:1]
	ds_load_b128 v[0:3], v10 offset:128
	ds_load_b128 v[4:7], v10 offset:144
	;; [unrolled: 19-line block ×7, first 2 shown]
	s_wait_dscnt 0x1
	v_add_f64_e32 v[0:1], v[0:1], v[8:9]
	s_delay_alu instid0(VALU_DEP_1) | instskip(SKIP_1) | instid1(VALU_DEP_1)
	v_add_f64_e32 v[0:1], v[2:3], v[0:1]
	s_wait_dscnt 0x0
	v_add_f64_e32 v[0:1], v[4:5], v[0:1]
	s_delay_alu instid0(VALU_DEP_1) | instskip(SKIP_4) | instid1(VALU_DEP_1)
	v_add_f64_e32 v[8:9], v[6:7], v[0:1]
	ds_load_b128 v[0:3], v10 offset:480
	ds_load_b128 v[4:7], v10 offset:496
	s_wait_dscnt 0x1
	v_add_f64_e32 v[0:1], v[0:1], v[8:9]
	v_dual_add_f64 v[0:1], v[2:3], v[0:1] :: v_dual_mov_b32 v2, s0
	s_wait_dscnt 0x0
	s_delay_alu instid0(VALU_DEP_1) | instskip(NEXT) | instid1(VALU_DEP_1)
	v_add_f64_e32 v[0:1], v[4:5], v[0:1]
	v_add_f64_e32 v[0:1], v[6:7], v[0:1]
	s_wait_kmcnt 0x0
	global_store_b64 v2, v[0:1], s[66:67] scale_offset
.LBB1_12:
	s_sendmsg sendmsg(MSG_DEALLOC_VGPRS)
	s_endpgm
	.section	.rodata,"a",@progbits
	.p2align	6, 0x0
	.amdhsa_kernel _Z13cuda_mat_J_PIPKdPKiiS0_PdS0_
		.amdhsa_group_segment_fixed_size 512
		.amdhsa_private_segment_fixed_size 384
		.amdhsa_kernarg_size 48
		.amdhsa_user_sgpr_count 2
		.amdhsa_user_sgpr_dispatch_ptr 0
		.amdhsa_user_sgpr_queue_ptr 0
		.amdhsa_user_sgpr_kernarg_segment_ptr 1
		.amdhsa_user_sgpr_dispatch_id 0
		.amdhsa_user_sgpr_kernarg_preload_length 0
		.amdhsa_user_sgpr_kernarg_preload_offset 0
		.amdhsa_user_sgpr_private_segment_size 0
		.amdhsa_wavefront_size32 1
		.amdhsa_uses_dynamic_stack 0
		.amdhsa_enable_private_segment 1
		.amdhsa_system_sgpr_workgroup_id_x 1
		.amdhsa_system_sgpr_workgroup_id_y 1
		.amdhsa_system_sgpr_workgroup_id_z 0
		.amdhsa_system_sgpr_workgroup_info 0
		.amdhsa_system_vgpr_workitem_id 1
		.amdhsa_next_free_vgpr 120
		.amdhsa_next_free_sgpr 102
		.amdhsa_named_barrier_count 0
		.amdhsa_reserve_vcc 1
		.amdhsa_float_round_mode_32 0
		.amdhsa_float_round_mode_16_64 0
		.amdhsa_float_denorm_mode_32 3
		.amdhsa_float_denorm_mode_16_64 3
		.amdhsa_fp16_overflow 0
		.amdhsa_memory_ordered 1
		.amdhsa_forward_progress 1
		.amdhsa_inst_pref_size 13
		.amdhsa_round_robin_scheduling 0
		.amdhsa_exception_fp_ieee_invalid_op 0
		.amdhsa_exception_fp_denorm_src 0
		.amdhsa_exception_fp_ieee_div_zero 0
		.amdhsa_exception_fp_ieee_overflow 0
		.amdhsa_exception_fp_ieee_underflow 0
		.amdhsa_exception_fp_ieee_inexact 0
		.amdhsa_exception_int_div_zero 0
	.end_amdhsa_kernel
	.text
.Lfunc_end1:
	.size	_Z13cuda_mat_J_PIPKdPKiiS0_PdS0_, .Lfunc_end1-_Z13cuda_mat_J_PIPKdPKiiS0_PdS0_
                                        ; -- End function
	.set _Z13cuda_mat_J_PIPKdPKiiS0_PdS0_.num_vgpr, max(110, .L_Z12cuda_rys_pbfPKdS0_S0_S0_.num_vgpr)
	.set _Z13cuda_mat_J_PIPKdPKiiS0_PdS0_.num_agpr, max(0, .L_Z12cuda_rys_pbfPKdS0_S0_S0_.num_agpr)
	.set _Z13cuda_mat_J_PIPKdPKiiS0_PdS0_.numbered_sgpr, max(102, .L_Z12cuda_rys_pbfPKdS0_S0_S0_.numbered_sgpr)
	.set _Z13cuda_mat_J_PIPKdPKiiS0_PdS0_.num_named_barrier, max(0, .L_Z12cuda_rys_pbfPKdS0_S0_S0_.num_named_barrier)
	.set _Z13cuda_mat_J_PIPKdPKiiS0_PdS0_.private_seg_size, 0+max(.L_Z12cuda_rys_pbfPKdS0_S0_S0_.private_seg_size)
	.set _Z13cuda_mat_J_PIPKdPKiiS0_PdS0_.uses_vcc, or(1, .L_Z12cuda_rys_pbfPKdS0_S0_S0_.uses_vcc)
	.set _Z13cuda_mat_J_PIPKdPKiiS0_PdS0_.uses_flat_scratch, or(0, .L_Z12cuda_rys_pbfPKdS0_S0_S0_.uses_flat_scratch)
	.set _Z13cuda_mat_J_PIPKdPKiiS0_PdS0_.has_dyn_sized_stack, or(0, .L_Z12cuda_rys_pbfPKdS0_S0_S0_.has_dyn_sized_stack)
	.set _Z13cuda_mat_J_PIPKdPKiiS0_PdS0_.has_recursion, or(0, .L_Z12cuda_rys_pbfPKdS0_S0_S0_.has_recursion)
	.set _Z13cuda_mat_J_PIPKdPKiiS0_PdS0_.has_indirect_call, or(0, .L_Z12cuda_rys_pbfPKdS0_S0_S0_.has_indirect_call)
	.section	.AMDGPU.csdata,"",@progbits
; Kernel info:
; codeLenInByte = 1620
; TotalNumSgprs: 104
; NumVgprs: 120
; ScratchSize: 384
; MemoryBound: 0
; FloatMode: 240
; IeeeMode: 1
; LDSByteSize: 512 bytes/workgroup (compile time only)
; SGPRBlocks: 0
; VGPRBlocks: 7
; NumSGPRsForWavesPerEU: 104
; NumVGPRsForWavesPerEU: 120
; NamedBarCnt: 0
; Occupancy: 8
; WaveLimiterHint : 0
; COMPUTE_PGM_RSRC2:SCRATCH_EN: 1
; COMPUTE_PGM_RSRC2:USER_SGPR: 2
; COMPUTE_PGM_RSRC2:TRAP_HANDLER: 0
; COMPUTE_PGM_RSRC2:TGID_X_EN: 1
; COMPUTE_PGM_RSRC2:TGID_Y_EN: 1
; COMPUTE_PGM_RSRC2:TGID_Z_EN: 0
; COMPUTE_PGM_RSRC2:TIDIG_COMP_CNT: 1
	.text
	.protected	_Z13cuda_mat_K_PIPKdPKiiS0_PdS0_ ; -- Begin function _Z13cuda_mat_K_PIPKdPKiiS0_PdS0_
	.globl	_Z13cuda_mat_K_PIPKdPKiiS0_PdS0_
	.p2align	8
	.type	_Z13cuda_mat_K_PIPKdPKiiS0_PdS0_,@function
_Z13cuda_mat_K_PIPKdPKiiS0_PdS0_:       ; @_Z13cuda_mat_K_PIPKdPKiiS0_PdS0_
; %bb.0:
	s_load_b32 s49, s[0:1], 0x10
	s_bfe_u32 s3, ttmp6, 0x4000c
	s_bfe_u32 s4, ttmp6, 0x40010
	s_add_co_i32 s3, s3, 1
	s_add_co_i32 s4, s4, 1
	s_and_b32 s2, ttmp6, 15
	s_bfe_u32 s5, ttmp6, 0x40004
	s_mul_i32 s3, ttmp9, s3
	s_mul_i32 s4, ttmp7, s4
	s_getreg_b32 s6, hwreg(HW_REG_IB_STS2, 6, 4)
	s_add_co_i32 s2, s2, s3
	s_add_co_i32 s5, s5, s4
	s_cmp_eq_u32 s6, 0
	s_mov_b32 s32, 0
	s_cselect_b32 s64, ttmp9, s2
	s_cselect_b32 s50, ttmp7, s5
	s_wait_kmcnt 0x0
	s_cmp_ge_i32 s64, s49
	s_cselect_b32 s2, -1, 0
	s_cmp_gt_i32 s50, s64
	s_cselect_b32 s3, -1, 0
	s_delay_alu instid0(SALU_CYCLE_1) | instskip(NEXT) | instid1(SALU_CYCLE_1)
	s_or_b32 s2, s3, s2
	s_and_b32 vcc_lo, exec_lo, s2
	s_cbranch_vccnz .LBB2_12
; %bb.1:
	s_load_b64 s[66:67], s[0:1], 0x20
	v_bfe_u32 v40, v0, 10, 10
	v_and_b32_e32 v41, 0x3ff, v0
	v_mov_b64_e32 v[92:93], 0
	s_mov_b32 s96, exec_lo
	s_delay_alu instid0(VALU_DEP_3) | instskip(NEXT) | instid1(VALU_DEP_1)
	v_lshlrev_b32_e32 v42, 3, v40
	v_lshl_add_u32 v43, v41, 6, v42
	ds_store_b64 v43, v[92:93]
	v_cmpx_gt_i32_e64 s49, v41
	s_cbranch_execz .LBB2_10
; %bb.2:
	s_clause 0x2
	s_load_b128 s[52:55], s[0:1], 0x0
	s_load_b64 s[68:69], s[0:1], 0x18
	s_load_b64 s[70:71], s[0:1], 0x28
	s_ashr_i32 s65, s64, 31
	s_ashr_i32 s51, s50, 31
	s_wait_xcnt 0x0
	s_lshl_b64 s[0:1], s[64:65], 2
	s_lshl_b64 s[2:3], s[50:51], 2
	v_dual_mov_b32 v95, 0 :: v_dual_lshlrev_b32 v94, 2, v40
	v_cmp_gt_u32_e64 s33, s49, v40
	v_mov_b32_e32 v44, v41
	s_mov_b64 s[80:81], 0x3c9cd2b297d889bc
	s_mov_b32 s97, 0
	s_get_pc_i64 s[82:83]
	s_add_nc_u64 s[82:83], s[82:83], _Z12cuda_rys_pbfPKdS0_S0_S0_@rel64+4
	s_wait_kmcnt 0x0
	s_add_nc_u64 s[0:1], s[54:55], s[0:1]
	s_add_nc_u64 s[2:3], s[54:55], s[2:3]
	s_clause 0x1
	s_load_b32 s51, s[0:1], 0x0
	s_load_b32 s65, s[2:3], 0x0
	s_wait_xcnt 0x0
	s_lshl_b32 s0, s64, 3
	s_lshl_b32 s2, s50, 3
	v_add_nc_u64_e32 v[104:105], s[54:55], v[94:95]
	s_ashr_i32 s1, s0, 31
	s_ashr_i32 s3, s2, 31
	s_lshl_b64 s[0:1], s[0:1], 3
	s_lshl_b64 s[2:3], s[2:3], 3
	s_add_nc_u64 s[84:85], s[52:53], s[0:1]
	s_add_nc_u64 s[86:87], s[52:53], s[2:3]
	s_branch .LBB2_5
.LBB2_3:                                ;   in Loop: Header=BB2_5 Depth=1
	s_or_b32 exec_lo, exec_lo, s99
.LBB2_4:                                ;   in Loop: Header=BB2_5 Depth=1
	s_delay_alu instid0(SALU_CYCLE_1) | instskip(SKIP_1) | instid1(VALU_DEP_1)
	s_or_b32 exec_lo, exec_lo, s98
	v_add_nc_u32_e32 v44, 8, v44
	v_cmp_le_i32_e32 vcc_lo, s49, v44
	s_or_b32 s97, vcc_lo, s97
	s_delay_alu instid0(SALU_CYCLE_1)
	s_and_not1_b32 exec_lo, exec_lo, s97
	s_cbranch_execz .LBB2_10
.LBB2_5:                                ; =>This Loop Header: Depth=1
                                        ;     Child Loop BB2_8 Depth 2
	s_and_saveexec_b32 s98, s33
	s_cbranch_execz .LBB2_4
; %bb.6:                                ;   in Loop: Header=BB2_5 Depth=1
	global_load_b32 v45, v44, s[54:55] scale_offset
	v_mov_b64_e32 v[108:109], v[104:105]
	s_mov_b32 s99, 0
	v_dual_lshlrev_b32 v94, 3, v44 :: v_dual_mov_b32 v46, v40
	s_delay_alu instid0(VALU_DEP_1) | instskip(SKIP_3) | instid1(VALU_DEP_1)
	v_lshl_add_u64 v[88:89], v[94:95], 3, s[52:53]
	s_wait_loadcnt 0x0
	s_wait_kmcnt 0x0
	v_dual_mov_b32 v94, v42 :: v_dual_max_i32 v0, s51, v45
	v_mad_u32 v0, v0, v0, v0
	s_delay_alu instid0(VALU_DEP_1) | instskip(NEXT) | instid1(VALU_DEP_1)
	v_lshrrev_b32_e32 v1, 31, v0
	v_add_nc_u32_e32 v0, v0, v1
	s_delay_alu instid0(VALU_DEP_1) | instskip(NEXT) | instid1(VALU_DEP_1)
	v_dual_ashrrev_i32 v0, 1, v0 :: v_dual_min_i32 v1, s51, v45
	v_add_nc_u32_e32 v0, v0, v1
	global_load_b64 v[106:107], v0, s[70:71] scale_offset
	s_branch .LBB2_8
.LBB2_7:                                ;   in Loop: Header=BB2_8 Depth=2
	s_or_b32 exec_lo, exec_lo, s100
	v_add_nc_u32_e32 v46, 8, v46
	v_add_nc_u64_e32 v[108:109], 32, v[108:109]
	v_add_nc_u32_e32 v94, 64, v94
	s_delay_alu instid0(VALU_DEP_3) | instskip(SKIP_1) | instid1(SALU_CYCLE_1)
	v_cmp_le_i32_e32 vcc_lo, s49, v46
	s_or_b32 s99, vcc_lo, s99
	s_and_not1_b32 exec_lo, exec_lo, s99
	s_cbranch_execz .LBB2_3
.LBB2_8:                                ;   Parent Loop BB2_5 Depth=1
                                        ; =>  This Inner Loop Header: Depth=2
	global_load_b32 v2, v[108:109], off
	s_mov_b32 s100, exec_lo
	s_wait_loadcnt 0x0
	v_max_i32_e32 v3, v45, v2
	s_delay_alu instid0(VALU_DEP_1) | instskip(SKIP_1) | instid1(VALU_DEP_1)
	v_mad_u32 v3, v3, v3, v3
	s_wait_xcnt 0x1
	v_dual_lshrrev_b32 v4, 31, v3 :: v_dual_max_i32 v0, s65, v2
	s_delay_alu instid0(VALU_DEP_1) | instskip(NEXT) | instid1(VALU_DEP_2)
	v_mad_u32 v0, v0, v0, v0
	v_add_nc_u32_e32 v3, v3, v4
	s_delay_alu instid0(VALU_DEP_1) | instskip(NEXT) | instid1(VALU_DEP_1)
	v_dual_ashrrev_i32 v3, 1, v3 :: v_dual_lshrrev_b32 v1, 31, v0
	v_dual_add_nc_u32 v0, v0, v1 :: v_dual_min_i32 v1, s65, v2
	s_delay_alu instid0(VALU_DEP_1) | instskip(NEXT) | instid1(VALU_DEP_1)
	v_dual_ashrrev_i32 v0, 1, v0 :: v_dual_min_i32 v2, v45, v2
	v_dual_add_nc_u32 v2, v3, v2 :: v_dual_add_nc_u32 v0, v0, v1
	global_load_b64 v[110:111], v2, s[68:69] scale_offset
	global_load_b64 v[0:1], v0, s[70:71] scale_offset
	s_wait_loadcnt 0x0
	s_wait_xcnt 0x0
	v_mul_f64_e32 v[0:1], v[106:107], v[0:1]
	s_delay_alu instid0(VALU_DEP_1) | instskip(NEXT) | instid1(VALU_DEP_1)
	v_mul_f64_e32 v[0:1], v[0:1], v[110:111]
	v_cmpx_nlt_f64_e64 |v[0:1]|, s[80:81]
	s_cbranch_execz .LBB2_7
; %bb.9:                                ;   in Loop: Header=BB2_8 Depth=2
	v_lshl_add_u64 v[6:7], v[94:95], 3, s[52:53]
	v_dual_mov_b32 v0, s84 :: v_dual_mov_b32 v1, s85
	v_dual_mov_b32 v2, v88 :: v_dual_mov_b32 v3, v89
	v_dual_mov_b32 v4, s86 :: v_dual_mov_b32 v5, s87
	s_swap_pc_i64 s[30:31], s[82:83]
	s_delay_alu instid0(VALU_DEP_3) | instskip(NEXT) | instid1(VALU_DEP_1)
	v_cvt_f64_f32_e32 v[0:1], v0
	v_fmac_f64_e32 v[92:93], v[110:111], v[0:1]
	ds_store_b64 v43, v[92:93]
	s_branch .LBB2_7
.LBB2_10:
	s_or_b32 exec_lo, exec_lo, s96
	v_or_b32_e32 v0, v41, v40
	s_wait_storecnt_dscnt 0x0
	s_barrier_signal -1
	s_barrier_wait -1
	s_wait_xcnt 0x0
	s_mov_b32 s0, exec_lo
	v_cmpx_eq_u32_e32 0, v0
	s_cbranch_execz .LBB2_12
; %bb.11:
	v_mov_b32_e32 v10, 0
	s_add_co_i32 s0, s64, 1
	ds_load_b128 v[0:3], v10
	ds_load_b128 v[4:7], v10 offset:16
	s_mul_i32 s0, s0, s64
	s_delay_alu instid0(SALU_CYCLE_1) | instskip(NEXT) | instid1(SALU_CYCLE_1)
	s_lshr_b32 s1, s0, 31
	s_add_co_i32 s0, s0, s1
	s_delay_alu instid0(SALU_CYCLE_1) | instskip(NEXT) | instid1(SALU_CYCLE_1)
	s_ashr_i32 s0, s0, 1
	s_add_co_i32 s0, s0, s50
	s_wait_dscnt 0x1
	v_add_f64_e32 v[0:1], 0, v[0:1]
	s_delay_alu instid0(VALU_DEP_1) | instskip(SKIP_1) | instid1(VALU_DEP_1)
	v_add_f64_e32 v[0:1], v[2:3], v[0:1]
	s_wait_dscnt 0x0
	v_add_f64_e32 v[0:1], v[4:5], v[0:1]
	s_delay_alu instid0(VALU_DEP_1) | instskip(SKIP_4) | instid1(VALU_DEP_1)
	v_add_f64_e32 v[8:9], v[6:7], v[0:1]
	ds_load_b128 v[0:3], v10 offset:32
	ds_load_b128 v[4:7], v10 offset:48
	s_wait_dscnt 0x1
	v_add_f64_e32 v[0:1], v[0:1], v[8:9]
	v_add_f64_e32 v[0:1], v[2:3], v[0:1]
	s_wait_dscnt 0x0
	s_delay_alu instid0(VALU_DEP_1) | instskip(NEXT) | instid1(VALU_DEP_1)
	v_add_f64_e32 v[0:1], v[4:5], v[0:1]
	v_add_f64_e32 v[8:9], v[6:7], v[0:1]
	ds_load_b128 v[0:3], v10 offset:64
	ds_load_b128 v[4:7], v10 offset:80
	s_wait_dscnt 0x1
	v_add_f64_e32 v[0:1], v[0:1], v[8:9]
	s_delay_alu instid0(VALU_DEP_1) | instskip(SKIP_1) | instid1(VALU_DEP_1)
	v_add_f64_e32 v[0:1], v[2:3], v[0:1]
	s_wait_dscnt 0x0
	v_add_f64_e32 v[0:1], v[4:5], v[0:1]
	s_delay_alu instid0(VALU_DEP_1) | instskip(SKIP_4) | instid1(VALU_DEP_1)
	v_add_f64_e32 v[8:9], v[6:7], v[0:1]
	ds_load_b128 v[0:3], v10 offset:96
	ds_load_b128 v[4:7], v10 offset:112
	s_wait_dscnt 0x1
	v_add_f64_e32 v[0:1], v[0:1], v[8:9]
	v_add_f64_e32 v[0:1], v[2:3], v[0:1]
	s_wait_dscnt 0x0
	s_delay_alu instid0(VALU_DEP_1) | instskip(NEXT) | instid1(VALU_DEP_1)
	v_add_f64_e32 v[0:1], v[4:5], v[0:1]
	v_add_f64_e32 v[8:9], v[6:7], v[0:1]
	ds_load_b128 v[0:3], v10 offset:128
	ds_load_b128 v[4:7], v10 offset:144
	;; [unrolled: 19-line block ×7, first 2 shown]
	s_wait_dscnt 0x1
	v_add_f64_e32 v[0:1], v[0:1], v[8:9]
	s_delay_alu instid0(VALU_DEP_1) | instskip(SKIP_1) | instid1(VALU_DEP_1)
	v_add_f64_e32 v[0:1], v[2:3], v[0:1]
	s_wait_dscnt 0x0
	v_add_f64_e32 v[0:1], v[4:5], v[0:1]
	s_delay_alu instid0(VALU_DEP_1) | instskip(SKIP_4) | instid1(VALU_DEP_1)
	v_add_f64_e32 v[8:9], v[6:7], v[0:1]
	ds_load_b128 v[0:3], v10 offset:480
	ds_load_b128 v[4:7], v10 offset:496
	s_wait_dscnt 0x1
	v_add_f64_e32 v[0:1], v[0:1], v[8:9]
	v_dual_add_f64 v[0:1], v[2:3], v[0:1] :: v_dual_mov_b32 v2, s0
	s_wait_dscnt 0x0
	s_delay_alu instid0(VALU_DEP_1) | instskip(NEXT) | instid1(VALU_DEP_1)
	v_add_f64_e32 v[0:1], v[4:5], v[0:1]
	v_add_f64_e32 v[0:1], v[6:7], v[0:1]
	s_wait_kmcnt 0x0
	global_store_b64 v2, v[0:1], s[66:67] scale_offset
.LBB2_12:
	s_sendmsg sendmsg(MSG_DEALLOC_VGPRS)
	s_endpgm
	.section	.rodata,"a",@progbits
	.p2align	6, 0x0
	.amdhsa_kernel _Z13cuda_mat_K_PIPKdPKiiS0_PdS0_
		.amdhsa_group_segment_fixed_size 512
		.amdhsa_private_segment_fixed_size 384
		.amdhsa_kernarg_size 48
		.amdhsa_user_sgpr_count 2
		.amdhsa_user_sgpr_dispatch_ptr 0
		.amdhsa_user_sgpr_queue_ptr 0
		.amdhsa_user_sgpr_kernarg_segment_ptr 1
		.amdhsa_user_sgpr_dispatch_id 0
		.amdhsa_user_sgpr_kernarg_preload_length 0
		.amdhsa_user_sgpr_kernarg_preload_offset 0
		.amdhsa_user_sgpr_private_segment_size 0
		.amdhsa_wavefront_size32 1
		.amdhsa_uses_dynamic_stack 0
		.amdhsa_enable_private_segment 1
		.amdhsa_system_sgpr_workgroup_id_x 1
		.amdhsa_system_sgpr_workgroup_id_y 1
		.amdhsa_system_sgpr_workgroup_id_z 0
		.amdhsa_system_sgpr_workgroup_info 0
		.amdhsa_system_vgpr_workitem_id 1
		.amdhsa_next_free_vgpr 120
		.amdhsa_next_free_sgpr 101
		.amdhsa_named_barrier_count 0
		.amdhsa_reserve_vcc 1
		.amdhsa_float_round_mode_32 0
		.amdhsa_float_round_mode_16_64 0
		.amdhsa_float_denorm_mode_32 3
		.amdhsa_float_denorm_mode_16_64 3
		.amdhsa_fp16_overflow 0
		.amdhsa_memory_ordered 1
		.amdhsa_forward_progress 1
		.amdhsa_inst_pref_size 13
		.amdhsa_round_robin_scheduling 0
		.amdhsa_exception_fp_ieee_invalid_op 0
		.amdhsa_exception_fp_denorm_src 0
		.amdhsa_exception_fp_ieee_div_zero 0
		.amdhsa_exception_fp_ieee_overflow 0
		.amdhsa_exception_fp_ieee_underflow 0
		.amdhsa_exception_fp_ieee_inexact 0
		.amdhsa_exception_int_div_zero 0
	.end_amdhsa_kernel
	.text
.Lfunc_end2:
	.size	_Z13cuda_mat_K_PIPKdPKiiS0_PdS0_, .Lfunc_end2-_Z13cuda_mat_K_PIPKdPKiiS0_PdS0_
                                        ; -- End function
	.set _Z13cuda_mat_K_PIPKdPKiiS0_PdS0_.num_vgpr, max(112, .L_Z12cuda_rys_pbfPKdS0_S0_S0_.num_vgpr)
	.set _Z13cuda_mat_K_PIPKdPKiiS0_PdS0_.num_agpr, max(0, .L_Z12cuda_rys_pbfPKdS0_S0_S0_.num_agpr)
	.set _Z13cuda_mat_K_PIPKdPKiiS0_PdS0_.numbered_sgpr, max(101, .L_Z12cuda_rys_pbfPKdS0_S0_S0_.numbered_sgpr)
	.set _Z13cuda_mat_K_PIPKdPKiiS0_PdS0_.num_named_barrier, max(0, .L_Z12cuda_rys_pbfPKdS0_S0_S0_.num_named_barrier)
	.set _Z13cuda_mat_K_PIPKdPKiiS0_PdS0_.private_seg_size, 0+max(.L_Z12cuda_rys_pbfPKdS0_S0_S0_.private_seg_size)
	.set _Z13cuda_mat_K_PIPKdPKiiS0_PdS0_.uses_vcc, or(1, .L_Z12cuda_rys_pbfPKdS0_S0_S0_.uses_vcc)
	.set _Z13cuda_mat_K_PIPKdPKiiS0_PdS0_.uses_flat_scratch, or(0, .L_Z12cuda_rys_pbfPKdS0_S0_S0_.uses_flat_scratch)
	.set _Z13cuda_mat_K_PIPKdPKiiS0_PdS0_.has_dyn_sized_stack, or(0, .L_Z12cuda_rys_pbfPKdS0_S0_S0_.has_dyn_sized_stack)
	.set _Z13cuda_mat_K_PIPKdPKiiS0_PdS0_.has_recursion, or(0, .L_Z12cuda_rys_pbfPKdS0_S0_S0_.has_recursion)
	.set _Z13cuda_mat_K_PIPKdPKiiS0_PdS0_.has_indirect_call, or(0, .L_Z12cuda_rys_pbfPKdS0_S0_S0_.has_indirect_call)
	.section	.AMDGPU.csdata,"",@progbits
; Kernel info:
; codeLenInByte = 1640
; TotalNumSgprs: 103
; NumVgprs: 120
; ScratchSize: 384
; MemoryBound: 0
; FloatMode: 240
; IeeeMode: 1
; LDSByteSize: 512 bytes/workgroup (compile time only)
; SGPRBlocks: 0
; VGPRBlocks: 7
; NumSGPRsForWavesPerEU: 103
; NumVGPRsForWavesPerEU: 120
; NamedBarCnt: 0
; Occupancy: 8
; WaveLimiterHint : 0
; COMPUTE_PGM_RSRC2:SCRATCH_EN: 1
; COMPUTE_PGM_RSRC2:USER_SGPR: 2
; COMPUTE_PGM_RSRC2:TRAP_HANDLER: 0
; COMPUTE_PGM_RSRC2:TGID_X_EN: 1
; COMPUTE_PGM_RSRC2:TGID_Y_EN: 1
; COMPUTE_PGM_RSRC2:TGID_Z_EN: 0
; COMPUTE_PGM_RSRC2:TIDIG_COMP_CNT: 1
	.text
	.p2alignl 7, 3214868480
	.fill 96, 4, 3214868480
	.section	.AMDGPU.gpr_maximums,"",@progbits
	.set amdgpu.max_num_vgpr, 120
	.set amdgpu.max_num_agpr, 0
	.set amdgpu.max_num_sgpr, 96
	.text
	.type	__hip_cuid_707273e2b36267e,@object ; @__hip_cuid_707273e2b36267e
	.section	.bss,"aw",@nobits
	.globl	__hip_cuid_707273e2b36267e
__hip_cuid_707273e2b36267e:
	.byte	0                               ; 0x0
	.size	__hip_cuid_707273e2b36267e, 1

	.ident	"AMD clang version 22.0.0git (https://github.com/RadeonOpenCompute/llvm-project roc-7.2.4 26084 f58b06dce1f9c15707c5f808fd002e18c2accf7e)"
	.section	".note.GNU-stack","",@progbits
	.addrsig
	.addrsig_sym __hip_cuid_707273e2b36267e
	.amdgpu_metadata
---
amdhsa.kernels:
  - .args:
      - .actual_access:  read_only
        .address_space:  global
        .offset:         0
        .size:           8
        .value_kind:     global_buffer
      - .actual_access:  read_only
        .address_space:  global
        .offset:         8
        .size:           8
        .value_kind:     global_buffer
      - .offset:         16
        .size:           4
        .value_kind:     by_value
      - .actual_access:  read_only
        .address_space:  global
        .offset:         24
        .size:           8
        .value_kind:     global_buffer
      - .actual_access:  write_only
        .address_space:  global
        .offset:         32
        .size:           8
        .value_kind:     global_buffer
      - .actual_access:  read_only
        .address_space:  global
        .offset:         40
        .size:           8
        .value_kind:     global_buffer
    .group_segment_fixed_size: 512
    .kernarg_segment_align: 8
    .kernarg_segment_size: 48
    .language:       OpenCL C
    .language_version:
      - 2
      - 0
    .max_flat_workgroup_size: 1024
    .name:           _Z13cuda_mat_J_PIPKdPKiiS0_PdS0_
    .private_segment_fixed_size: 384
    .sgpr_count:     104
    .sgpr_spill_count: 0
    .symbol:         _Z13cuda_mat_J_PIPKdPKiiS0_PdS0_.kd
    .uniform_work_group_size: 1
    .uses_dynamic_stack: false
    .vgpr_count:     120
    .vgpr_spill_count: 0
    .wavefront_size: 32
  - .args:
      - .actual_access:  read_only
        .address_space:  global
        .offset:         0
        .size:           8
        .value_kind:     global_buffer
      - .actual_access:  read_only
        .address_space:  global
        .offset:         8
        .size:           8
        .value_kind:     global_buffer
      - .offset:         16
        .size:           4
        .value_kind:     by_value
      - .actual_access:  read_only
        .address_space:  global
        .offset:         24
        .size:           8
        .value_kind:     global_buffer
      - .actual_access:  write_only
        .address_space:  global
        .offset:         32
        .size:           8
        .value_kind:     global_buffer
      - .actual_access:  read_only
        .address_space:  global
        .offset:         40
        .size:           8
        .value_kind:     global_buffer
    .group_segment_fixed_size: 512
    .kernarg_segment_align: 8
    .kernarg_segment_size: 48
    .language:       OpenCL C
    .language_version:
      - 2
      - 0
    .max_flat_workgroup_size: 1024
    .name:           _Z13cuda_mat_K_PIPKdPKiiS0_PdS0_
    .private_segment_fixed_size: 384
    .sgpr_count:     103
    .sgpr_spill_count: 0
    .symbol:         _Z13cuda_mat_K_PIPKdPKiiS0_PdS0_.kd
    .uniform_work_group_size: 1
    .uses_dynamic_stack: false
    .vgpr_count:     120
    .vgpr_spill_count: 0
    .wavefront_size: 32
amdhsa.target:   amdgcn-amd-amdhsa--gfx1250
amdhsa.version:
  - 1
  - 2
...

	.end_amdgpu_metadata
